;; amdgpu-corpus repo=ROCm/rocFFT kind=compiled arch=gfx1030 opt=O3
	.text
	.amdgcn_target "amdgcn-amd-amdhsa--gfx1030"
	.amdhsa_code_object_version 6
	.protected	fft_rtc_fwd_len1701_factors_3_3_3_3_3_7_wgs_63_tpt_63_halfLds_sp_op_CI_CI_unitstride_sbrr_dirReg ; -- Begin function fft_rtc_fwd_len1701_factors_3_3_3_3_3_7_wgs_63_tpt_63_halfLds_sp_op_CI_CI_unitstride_sbrr_dirReg
	.globl	fft_rtc_fwd_len1701_factors_3_3_3_3_3_7_wgs_63_tpt_63_halfLds_sp_op_CI_CI_unitstride_sbrr_dirReg
	.p2align	8
	.type	fft_rtc_fwd_len1701_factors_3_3_3_3_3_7_wgs_63_tpt_63_halfLds_sp_op_CI_CI_unitstride_sbrr_dirReg,@function
fft_rtc_fwd_len1701_factors_3_3_3_3_3_7_wgs_63_tpt_63_halfLds_sp_op_CI_CI_unitstride_sbrr_dirReg: ; @fft_rtc_fwd_len1701_factors_3_3_3_3_3_7_wgs_63_tpt_63_halfLds_sp_op_CI_CI_unitstride_sbrr_dirReg
; %bb.0:
	s_clause 0x2
	s_load_dwordx4 s[8:11], s[4:5], 0x0
	s_load_dwordx4 s[12:15], s[4:5], 0x58
	;; [unrolled: 1-line block ×3, first 2 shown]
	v_mul_u32_u24_e32 v1, 0x411, v0
	v_mov_b32_e32 v3, 0
	v_add_nc_u32_sdwa v5, s6, v1 dst_sel:DWORD dst_unused:UNUSED_PAD src0_sel:DWORD src1_sel:WORD_1
	v_mov_b32_e32 v1, 0
	v_mov_b32_e32 v6, v3
	v_mov_b32_e32 v2, 0
	s_waitcnt lgkmcnt(0)
	v_cmp_lt_u64_e64 s0, s[10:11], 2
	s_and_b32 vcc_lo, exec_lo, s0
	s_cbranch_vccnz .LBB0_8
; %bb.1:
	s_load_dwordx2 s[0:1], s[4:5], 0x10
	v_mov_b32_e32 v1, 0
	v_mov_b32_e32 v2, 0
	s_add_u32 s2, s18, 8
	s_addc_u32 s3, s19, 0
	s_add_u32 s6, s16, 8
	s_addc_u32 s7, s17, 0
	v_mov_b32_e32 v37, v2
	v_mov_b32_e32 v36, v1
	s_mov_b64 s[22:23], 1
	s_waitcnt lgkmcnt(0)
	s_add_u32 s20, s0, 8
	s_addc_u32 s21, s1, 0
.LBB0_2:                                ; =>This Inner Loop Header: Depth=1
	s_load_dwordx2 s[24:25], s[20:21], 0x0
                                        ; implicit-def: $vgpr38_vgpr39
	s_mov_b32 s0, exec_lo
	s_waitcnt lgkmcnt(0)
	v_or_b32_e32 v4, s25, v6
	v_cmpx_ne_u64_e32 0, v[3:4]
	s_xor_b32 s1, exec_lo, s0
	s_cbranch_execz .LBB0_4
; %bb.3:                                ;   in Loop: Header=BB0_2 Depth=1
	v_cvt_f32_u32_e32 v4, s24
	v_cvt_f32_u32_e32 v7, s25
	s_sub_u32 s0, 0, s24
	s_subb_u32 s26, 0, s25
	v_fmac_f32_e32 v4, 0x4f800000, v7
	v_rcp_f32_e32 v4, v4
	v_mul_f32_e32 v4, 0x5f7ffffc, v4
	v_mul_f32_e32 v7, 0x2f800000, v4
	v_trunc_f32_e32 v7, v7
	v_fmac_f32_e32 v4, 0xcf800000, v7
	v_cvt_u32_f32_e32 v7, v7
	v_cvt_u32_f32_e32 v4, v4
	v_mul_lo_u32 v8, s0, v7
	v_mul_hi_u32 v9, s0, v4
	v_mul_lo_u32 v10, s26, v4
	v_add_nc_u32_e32 v8, v9, v8
	v_mul_lo_u32 v9, s0, v4
	v_add_nc_u32_e32 v8, v8, v10
	v_mul_hi_u32 v10, v4, v9
	v_mul_lo_u32 v11, v4, v8
	v_mul_hi_u32 v12, v4, v8
	v_mul_hi_u32 v13, v7, v9
	v_mul_lo_u32 v9, v7, v9
	v_mul_hi_u32 v14, v7, v8
	v_mul_lo_u32 v8, v7, v8
	v_add_co_u32 v10, vcc_lo, v10, v11
	v_add_co_ci_u32_e32 v11, vcc_lo, 0, v12, vcc_lo
	v_add_co_u32 v9, vcc_lo, v10, v9
	v_add_co_ci_u32_e32 v9, vcc_lo, v11, v13, vcc_lo
	v_add_co_ci_u32_e32 v10, vcc_lo, 0, v14, vcc_lo
	v_add_co_u32 v8, vcc_lo, v9, v8
	v_add_co_ci_u32_e32 v9, vcc_lo, 0, v10, vcc_lo
	v_add_co_u32 v4, vcc_lo, v4, v8
	v_add_co_ci_u32_e32 v7, vcc_lo, v7, v9, vcc_lo
	v_mul_hi_u32 v8, s0, v4
	v_mul_lo_u32 v10, s26, v4
	v_mul_lo_u32 v9, s0, v7
	v_add_nc_u32_e32 v8, v8, v9
	v_mul_lo_u32 v9, s0, v4
	v_add_nc_u32_e32 v8, v8, v10
	v_mul_hi_u32 v10, v4, v9
	v_mul_lo_u32 v11, v4, v8
	v_mul_hi_u32 v12, v4, v8
	v_mul_hi_u32 v13, v7, v9
	v_mul_lo_u32 v9, v7, v9
	v_mul_hi_u32 v14, v7, v8
	v_mul_lo_u32 v8, v7, v8
	v_add_co_u32 v10, vcc_lo, v10, v11
	v_add_co_ci_u32_e32 v11, vcc_lo, 0, v12, vcc_lo
	v_add_co_u32 v9, vcc_lo, v10, v9
	v_add_co_ci_u32_e32 v9, vcc_lo, v11, v13, vcc_lo
	v_add_co_ci_u32_e32 v10, vcc_lo, 0, v14, vcc_lo
	v_add_co_u32 v8, vcc_lo, v9, v8
	v_add_co_ci_u32_e32 v9, vcc_lo, 0, v10, vcc_lo
	v_add_co_u32 v4, vcc_lo, v4, v8
	v_add_co_ci_u32_e32 v11, vcc_lo, v7, v9, vcc_lo
	v_mul_hi_u32 v13, v5, v4
	v_mad_u64_u32 v[9:10], null, v6, v4, 0
	v_mad_u64_u32 v[7:8], null, v5, v11, 0
	;; [unrolled: 1-line block ×3, first 2 shown]
	v_add_co_u32 v4, vcc_lo, v13, v7
	v_add_co_ci_u32_e32 v7, vcc_lo, 0, v8, vcc_lo
	v_add_co_u32 v4, vcc_lo, v4, v9
	v_add_co_ci_u32_e32 v4, vcc_lo, v7, v10, vcc_lo
	v_add_co_ci_u32_e32 v7, vcc_lo, 0, v12, vcc_lo
	v_add_co_u32 v4, vcc_lo, v4, v11
	v_add_co_ci_u32_e32 v9, vcc_lo, 0, v7, vcc_lo
	v_mul_lo_u32 v10, s25, v4
	v_mad_u64_u32 v[7:8], null, s24, v4, 0
	v_mul_lo_u32 v11, s24, v9
	v_sub_co_u32 v7, vcc_lo, v5, v7
	v_add3_u32 v8, v8, v11, v10
	v_sub_nc_u32_e32 v10, v6, v8
	v_subrev_co_ci_u32_e64 v10, s0, s25, v10, vcc_lo
	v_add_co_u32 v11, s0, v4, 2
	v_add_co_ci_u32_e64 v12, s0, 0, v9, s0
	v_sub_co_u32 v13, s0, v7, s24
	v_sub_co_ci_u32_e32 v8, vcc_lo, v6, v8, vcc_lo
	v_subrev_co_ci_u32_e64 v10, s0, 0, v10, s0
	v_cmp_le_u32_e32 vcc_lo, s24, v13
	v_cmp_eq_u32_e64 s0, s25, v8
	v_cndmask_b32_e64 v13, 0, -1, vcc_lo
	v_cmp_le_u32_e32 vcc_lo, s25, v10
	v_cndmask_b32_e64 v14, 0, -1, vcc_lo
	v_cmp_le_u32_e32 vcc_lo, s24, v7
	;; [unrolled: 2-line block ×3, first 2 shown]
	v_cndmask_b32_e64 v15, 0, -1, vcc_lo
	v_cmp_eq_u32_e32 vcc_lo, s25, v10
	v_cndmask_b32_e64 v7, v15, v7, s0
	v_cndmask_b32_e32 v10, v14, v13, vcc_lo
	v_add_co_u32 v13, vcc_lo, v4, 1
	v_add_co_ci_u32_e32 v14, vcc_lo, 0, v9, vcc_lo
	v_cmp_ne_u32_e32 vcc_lo, 0, v10
	v_cndmask_b32_e32 v8, v14, v12, vcc_lo
	v_cndmask_b32_e32 v10, v13, v11, vcc_lo
	v_cmp_ne_u32_e32 vcc_lo, 0, v7
	v_cndmask_b32_e32 v39, v9, v8, vcc_lo
	v_cndmask_b32_e32 v38, v4, v10, vcc_lo
.LBB0_4:                                ;   in Loop: Header=BB0_2 Depth=1
	s_andn2_saveexec_b32 s0, s1
	s_cbranch_execz .LBB0_6
; %bb.5:                                ;   in Loop: Header=BB0_2 Depth=1
	v_cvt_f32_u32_e32 v4, s24
	s_sub_i32 s1, 0, s24
	v_mov_b32_e32 v39, v3
	v_rcp_iflag_f32_e32 v4, v4
	v_mul_f32_e32 v4, 0x4f7ffffe, v4
	v_cvt_u32_f32_e32 v4, v4
	v_mul_lo_u32 v7, s1, v4
	v_mul_hi_u32 v7, v4, v7
	v_add_nc_u32_e32 v4, v4, v7
	v_mul_hi_u32 v4, v5, v4
	v_mul_lo_u32 v7, v4, s24
	v_add_nc_u32_e32 v8, 1, v4
	v_sub_nc_u32_e32 v7, v5, v7
	v_subrev_nc_u32_e32 v9, s24, v7
	v_cmp_le_u32_e32 vcc_lo, s24, v7
	v_cndmask_b32_e32 v7, v7, v9, vcc_lo
	v_cndmask_b32_e32 v4, v4, v8, vcc_lo
	v_cmp_le_u32_e32 vcc_lo, s24, v7
	v_add_nc_u32_e32 v8, 1, v4
	v_cndmask_b32_e32 v38, v4, v8, vcc_lo
.LBB0_6:                                ;   in Loop: Header=BB0_2 Depth=1
	s_or_b32 exec_lo, exec_lo, s0
	v_mul_lo_u32 v4, v39, s24
	v_mul_lo_u32 v9, v38, s25
	s_load_dwordx2 s[0:1], s[6:7], 0x0
	v_mad_u64_u32 v[7:8], null, v38, s24, 0
	s_load_dwordx2 s[24:25], s[2:3], 0x0
	s_add_u32 s22, s22, 1
	s_addc_u32 s23, s23, 0
	s_add_u32 s2, s2, 8
	s_addc_u32 s3, s3, 0
	s_add_u32 s6, s6, 8
	v_add3_u32 v4, v8, v9, v4
	v_sub_co_u32 v5, vcc_lo, v5, v7
	s_addc_u32 s7, s7, 0
	s_add_u32 s20, s20, 8
	v_sub_co_ci_u32_e32 v4, vcc_lo, v6, v4, vcc_lo
	s_addc_u32 s21, s21, 0
	s_waitcnt lgkmcnt(0)
	v_mul_lo_u32 v6, s0, v4
	v_mul_lo_u32 v7, s1, v5
	v_mad_u64_u32 v[1:2], null, s0, v5, v[1:2]
	v_mul_lo_u32 v4, s24, v4
	v_mul_lo_u32 v8, s25, v5
	v_mad_u64_u32 v[36:37], null, s24, v5, v[36:37]
	v_cmp_ge_u64_e64 s0, s[22:23], s[10:11]
	v_add3_u32 v2, v7, v2, v6
	v_add3_u32 v37, v8, v37, v4
	s_and_b32 vcc_lo, exec_lo, s0
	s_cbranch_vccnz .LBB0_9
; %bb.7:                                ;   in Loop: Header=BB0_2 Depth=1
	v_mov_b32_e32 v5, v38
	v_mov_b32_e32 v6, v39
	s_branch .LBB0_2
.LBB0_8:
	v_mov_b32_e32 v37, v2
	v_mov_b32_e32 v39, v6
	;; [unrolled: 1-line block ×4, first 2 shown]
.LBB0_9:
	s_load_dwordx2 s[0:1], s[4:5], 0x28
	v_mul_hi_u32 v4, 0x4104105, v0
	s_lshl_b64 s[4:5], s[10:11], 3
                                        ; implicit-def: $vgpr95
	s_add_u32 s2, s18, s4
	s_addc_u32 s3, s19, s5
	s_waitcnt lgkmcnt(0)
	v_cmp_gt_u64_e32 vcc_lo, s[0:1], v[38:39]
	v_cmp_le_u64_e64 s0, s[0:1], v[38:39]
	s_and_saveexec_b32 s1, s0
	s_xor_b32 s0, exec_lo, s1
; %bb.10:
	v_mul_u32_u24_e32 v1, 63, v4
                                        ; implicit-def: $vgpr4
	v_sub_nc_u32_e32 v95, v0, v1
                                        ; implicit-def: $vgpr0
                                        ; implicit-def: $vgpr1_vgpr2
; %bb.11:
	s_or_saveexec_b32 s1, s0
                                        ; implicit-def: $vgpr31
                                        ; implicit-def: $vgpr73
                                        ; implicit-def: $vgpr75
                                        ; implicit-def: $vgpr65
                                        ; implicit-def: $vgpr3
                                        ; implicit-def: $vgpr51
                                        ; implicit-def: $vgpr43
                                        ; implicit-def: $vgpr53
                                        ; implicit-def: $vgpr47
                                        ; implicit-def: $vgpr67
                                        ; implicit-def: $vgpr63
                                        ; implicit-def: $vgpr11
                                        ; implicit-def: $vgpr6
                                        ; implicit-def: $vgpr59
                                        ; implicit-def: $vgpr71
                                        ; implicit-def: $vgpr29
                                        ; implicit-def: $vgpr27
                                        ; implicit-def: $vgpr8
                                        ; implicit-def: $vgpr57
                                        ; implicit-def: $vgpr55
                                        ; implicit-def: $vgpr69
                                        ; implicit-def: $vgpr77
                                        ; implicit-def: $vgpr61
                                        ; implicit-def: $vgpr13
                                        ; implicit-def: $vgpr45
                                        ; implicit-def: $vgpr49
                                        ; implicit-def: $vgpr41
	s_xor_b32 exec_lo, exec_lo, s1
	s_cbranch_execz .LBB0_13
; %bb.12:
	s_add_u32 s4, s16, s4
	s_addc_u32 s5, s17, s5
	v_lshlrev_b64 v[1:2], 3, v[1:2]
	s_load_dwordx2 s[4:5], s[4:5], 0x0
	s_waitcnt lgkmcnt(0)
	v_mul_lo_u32 v3, s5, v38
	v_mul_lo_u32 v7, s4, v39
	v_mad_u64_u32 v[5:6], null, s4, v38, 0
	v_add3_u32 v6, v6, v7, v3
	v_mul_u32_u24_e32 v7, 63, v4
	v_lshlrev_b64 v[3:4], 3, v[5:6]
	v_sub_nc_u32_e32 v95, v0, v7
	v_add_co_u32 v0, s0, s12, v3
	v_add_co_ci_u32_e64 v3, s0, s13, v4, s0
	v_lshlrev_b32_e32 v4, 3, v95
	v_add_co_u32 v0, s0, v0, v1
	v_add_co_ci_u32_e64 v1, s0, v3, v2, s0
	v_add_co_u32 v0, s0, v0, v4
	v_add_co_ci_u32_e64 v1, s0, 0, v1, s0
	s_clause 0x3
	global_load_dwordx2 v[30:31], v[0:1], off
	global_load_dwordx2 v[40:41], v[0:1], off offset:504
	global_load_dwordx2 v[44:45], v[0:1], off offset:1008
	global_load_dwordx2 v[42:43], v[0:1], off offset:1512
	v_add_co_u32 v4, s0, 0x1000, v0
	v_add_co_ci_u32_e64 v5, s0, 0, v1, s0
	v_add_co_u32 v14, s0, 0x2000, v0
	v_add_co_ci_u32_e64 v15, s0, 0, v1, s0
	;; [unrolled: 2-line block ×5, first 2 shown]
	s_clause 0xd
	global_load_dwordx2 v[48:49], v[14:15], off offset:1384
	global_load_dwordx2 v[64:65], v[4:5], off offset:944
	;; [unrolled: 1-line block ×14, first 2 shown]
	v_add_co_u32 v0, s0, 0x3000, v0
	v_add_co_ci_u32_e64 v1, s0, 0, v1, s0
	s_clause 0x8
	global_load_dwordx2 v[10:11], v[16:17], off offset:976
	global_load_dwordx2 v[5:6], v[16:17], off offset:1480
	;; [unrolled: 1-line block ×9, first 2 shown]
.LBB0_13:
	s_or_b32 exec_lo, exec_lo, s1
	s_waitcnt vmcnt(1)
	v_add_f32_e32 v0, v72, v74
	v_add_f32_e32 v9, v64, v48
	;; [unrolled: 1-line block ×6, first 2 shown]
	v_sub_f32_e32 v4, v73, v75
	v_fmac_f32_e32 v30, -0.5, v0
	v_add_f32_e32 v0, v64, v40
	v_sub_f32_e32 v14, v65, v49
	v_fmac_f32_e32 v40, -0.5, v9
	v_mad_u32_u24 v78, v95, 12, 0
	v_add_f32_e32 v9, v2, v44
	v_fmac_f32_e32 v44, -0.5, v15
	v_sub_f32_e32 v15, v3, v51
	v_add_f32_e32 v21, v42, v12
	v_fmac_f32_e32 v42, -0.5, v18
	v_sub_f32_e32 v18, v13, v53
	;; [unrolled: 3-line block ×3, first 2 shown]
	v_add_f32_e32 v1, v1, v74
	v_fmamk_f32 v16, v4, 0x3f5db3d7, v30
	v_add_f32_e32 v0, v48, v0
	v_fmamk_f32 v17, v14, 0x3f5db3d7, v40
	v_add_f32_e32 v9, v50, v9
	v_fmamk_f32 v19, v15, 0x3f5db3d7, v44
	v_add_nc_u32_e32 v80, 0x5e8, v78
	v_add_f32_e32 v21, v52, v21
	v_fmamk_f32 v23, v18, 0x3f5db3d7, v42
	v_add_nc_u32_e32 v87, 0x8dc, v78
	v_add_f32_e32 v22, v46, v22
	v_fmamk_f32 v24, v20, 0x3f5db3d7, v60
	v_add_nc_u32_e32 v88, 0xbd0, v78
	ds_write2_b32 v78, v1, v16 offset1:1
	ds_write2_b32 v78, v0, v17 offset0:189 offset1:190
	ds_write2_b32 v80, v9, v19 offset1:1
	ds_write2_b32 v87, v21, v23 offset1:1
	;; [unrolled: 1-line block ×3, first 2 shown]
	v_add_f32_e32 v0, v3, v51
	v_add_f32_e32 v89, v3, v45
	;; [unrolled: 1-line block ×4, first 2 shown]
	v_fmac_f32_e32 v60, 0xbf5db3d7, v20
	v_fmac_f32_e32 v45, -0.5, v0
	v_sub_f32_e32 v0, v2, v50
	v_add_f32_e32 v2, v62, v68
	v_fmac_f32_e32 v43, -0.5, v1
	v_sub_f32_e32 v1, v12, v52
	v_add_nc_u32_e32 v93, 0xb00, v78
	v_fmamk_f32 v91, v0, 0xbf5db3d7, v45
	v_fmac_f32_e32 v45, 0x3f5db3d7, v0
	v_add_f32_e32 v0, v66, v62
	v_fmac_f32_e32 v66, -0.5, v2
	v_sub_f32_e32 v2, v63, v69
	v_fmac_f32_e32 v30, 0xbf5db3d7, v4
	v_fmac_f32_e32 v40, 0xbf5db3d7, v14
	v_add_f32_e32 v0, v0, v68
	v_fmac_f32_e32 v44, 0xbf5db3d7, v15
	v_fmamk_f32 v3, v2, 0x3f5db3d7, v66
	v_fmac_f32_e32 v66, 0xbf5db3d7, v2
	v_add_f32_e32 v2, v10, v54
	v_fmac_f32_e32 v42, 0xbf5db3d7, v18
	v_add_nc_u32_e32 v94, 0x500, v78
	v_add_nc_u32_e32 v96, 0xec8, v78
	v_fmamk_f32 v92, v1, 0xbf5db3d7, v43
	v_fmac_f32_e32 v43, 0x3f5db3d7, v1
	v_add_f32_e32 v1, v56, v54
	v_add_f32_e32 v2, v56, v2
	ds_write2_b32 v93, v60, v0 offset0:54 offset1:241
	ds_write2_b32 v78, v30, v40 offset0:2 offset1:191
	;; [unrolled: 1-line block ×3, first 2 shown]
	ds_write2_b32 v96, v3, v66 offset1:1
	ds_write_b32 v78, v2 offset:4536
	v_add_f32_e32 v42, v73, v75
	v_add_f32_e32 v98, v65, v49
	v_add_f32_e32 v4, v58, v70
	s_waitcnt vmcnt(0)
	v_add_f32_e32 v9, v28, v26
	v_fmac_f32_e32 v10, -0.5, v1
	v_sub_f32_e32 v1, v55, v57
	v_add_f32_e32 v12, v5, v58
	v_add_f32_e32 v73, v31, v73
	v_fmac_f32_e32 v31, -0.5, v42
	v_sub_f32_e32 v42, v72, v74
	v_add_f32_e32 v65, v65, v41
	v_fmac_f32_e32 v41, -0.5, v98
	v_add_f32_e32 v72, v47, v77
	v_sub_f32_e32 v48, v64, v48
	v_fmac_f32_e32 v5, -0.5, v4
	v_sub_f32_e32 v4, v59, v71
	v_add_f32_e32 v13, v28, v7
	v_lshl_add_u32 v30, v95, 2, 0
	v_fmac_f32_e32 v7, -0.5, v9
	v_sub_f32_e32 v9, v29, v27
	v_fmamk_f32 v14, v1, 0x3f5db3d7, v10
	v_fmac_f32_e32 v10, 0xbf5db3d7, v1
	v_add_nc_u32_e32 v40, 0x11bc, v78
	v_add_f32_e32 v0, v12, v70
	v_fmamk_f32 v64, v42, 0xbf5db3d7, v31
	v_fmac_f32_e32 v31, 0x3f5db3d7, v42
	v_add_f32_e32 v42, v77, v61
	v_fmac_f32_e32 v61, -0.5, v72
	v_sub_f32_e32 v46, v76, v46
	v_fmamk_f32 v72, v48, 0xbf5db3d7, v41
	v_add_f32_e32 v74, v67, v63
	v_fmac_f32_e32 v41, 0x3f5db3d7, v48
	v_fmamk_f32 v1, v4, 0x3f5db3d7, v5
	v_fmac_f32_e32 v5, 0xbf5db3d7, v4
	v_add_nc_u32_e32 v66, 0x14b0, v78
	v_add_f32_e32 v2, v26, v13
	v_add_nc_u32_e32 v79, 0x600, v30
	v_fmamk_f32 v4, v9, 0x3f5db3d7, v7
	v_fmac_f32_e32 v7, 0xbf5db3d7, v9
	v_add_nc_u32_e32 v97, 0x17a4, v78
	v_add_nc_u32_e32 v52, 0x1000, v30
	ds_write2_b32 v40, v14, v10 offset1:1
	ds_write_b32 v78, v0 offset:5292
	ds_write2_b32 v66, v1, v5 offset1:1
	ds_write_b32 v78, v2 offset:6048
	ds_write2_b32 v97, v4, v7 offset1:1
	v_add_nc_u32_e32 v81, 0x800, v30
	s_load_dwordx2 s[2:3], s[2:3], 0x0
	s_waitcnt lgkmcnt(0)
	s_barrier
	buffer_gl0_inv
	v_add_nc_u32_e32 v83, 0x1200, v30
	v_add_nc_u32_e32 v44, 0xa00, v30
	;; [unrolled: 1-line block ×8, first 2 shown]
	ds_read_b32 v7, v30 offset:6552
	ds_read2_b32 v[12:13], v30 offset1:63
	ds_read2_b32 v[0:1], v79 offset0:120 offset1:183
	ds_read2_b32 v[14:15], v52 offset0:110 offset1:173
	;; [unrolled: 1-line block ×12, first 2 shown]
	s_waitcnt lgkmcnt(0)
	s_barrier
	buffer_gl0_inv
	ds_write2_b32 v94, v45, v43 offset0:60 offset1:249
	v_fmamk_f32 v43, v46, 0xbf5db3d7, v61
	v_fmac_f32_e32 v61, 0x3f5db3d7, v46
	v_add_f32_e32 v45, v74, v69
	ds_write2_b32 v78, v31, v41 offset0:2 offset1:191
	v_add_f32_e32 v31, v51, v89
	v_add_f32_e32 v41, v63, v69
	;; [unrolled: 1-line block ×3, first 2 shown]
	ds_write2_b32 v93, v61, v45 offset0:54 offset1:241
	v_sub_f32_e32 v45, v62, v68
	ds_write2_b32 v80, v31, v91 offset1:1
	v_fmac_f32_e32 v67, -0.5, v41
	v_add_f32_e32 v31, v47, v42
	v_add_f32_e32 v41, v73, v75
	;; [unrolled: 1-line block ×3, first 2 shown]
	ds_write2_b32 v87, v46, v92 offset1:1
	v_fmamk_f32 v46, v45, 0xbf5db3d7, v67
	v_fmac_f32_e32 v67, 0x3f5db3d7, v45
	ds_write2_b32 v88, v31, v43 offset1:1
	ds_write2_b32 v78, v41, v64 offset1:1
	ds_write2_b32 v78, v42, v72 offset0:189 offset1:190
	v_add_f32_e32 v42, v6, v59
	v_add_f32_e32 v31, v11, v55
	;; [unrolled: 1-line block ×3, first 2 shown]
	ds_write2_b32 v96, v46, v67 offset1:1
	v_add_f32_e32 v46, v59, v71
	v_add_f32_e32 v48, v42, v71
	;; [unrolled: 1-line block ×4, first 2 shown]
	v_sub_f32_e32 v43, v54, v56
	v_add_f32_e32 v45, v57, v31
	v_add_nc_u32_e32 v31, 0x1f8, v95
	v_mov_b32_e32 v53, 0xaaab
	v_fmac_f32_e32 v11, -0.5, v41
	v_sub_f32_e32 v26, v28, v26
	v_fmac_f32_e32 v6, -0.5, v46
	v_fmac_f32_e32 v8, -0.5, v29
	v_add_nc_u32_e32 v46, 0x1b9, v95
	v_mul_u32_u24_sdwa v28, v31, v53 dst_sel:DWORD dst_unused:UNUSED_PAD src0_sel:WORD_0 src1_sel:DWORD
	v_fmamk_f32 v29, v43, 0xbf5db3d7, v11
	v_fmac_f32_e32 v11, 0x3f5db3d7, v43
	v_fmamk_f32 v41, v26, 0xbf5db3d7, v8
	v_fmac_f32_e32 v8, 0x3f5db3d7, v26
	v_mul_u32_u24_sdwa v26, v46, v53 dst_sel:DWORD dst_unused:UNUSED_PAD src0_sel:WORD_0 src1_sel:DWORD
	v_sub_f32_e32 v47, v58, v70
	v_add_f32_e32 v27, v27, v42
	v_lshrrev_b32_e32 v42, 17, v28
	ds_write_b32 v78, v45 offset:4536
	ds_write2_b32 v40, v29, v11 offset1:1
	v_lshrrev_b32_e32 v11, 17, v26
	v_fmamk_f32 v28, v47, 0xbf5db3d7, v6
	v_fmac_f32_e32 v6, 0x3f5db3d7, v47
	v_mul_lo_u16 v43, v42, 3
	ds_write_b32 v78, v48 offset:5292
	ds_write2_b32 v66, v28, v6 offset1:1
	ds_write_b32 v78, v27 offset:6048
	v_mul_lo_u16 v6, v11, 3
	v_mov_b32_e32 v45, 4
	v_sub_nc_u16 v43, v31, v43
	v_add_nc_u32_e32 v51, 0x17a, v95
	v_add_nc_u32_e32 v48, 0x13b, v95
	v_sub_nc_u16 v6, v46, v6
	ds_write2_b32 v97, v41, v8 offset1:1
	v_lshlrev_b32_sdwa v27, v45, v43 dst_sel:DWORD dst_unused:UNUSED_PAD src0_sel:DWORD src1_sel:WORD_0
	v_mul_u32_u24_sdwa v26, v51, v53 dst_sel:DWORD dst_unused:UNUSED_PAD src0_sel:WORD_0 src1_sel:DWORD
	s_waitcnt lgkmcnt(0)
	v_lshlrev_b32_sdwa v40, v45, v6 dst_sel:DWORD dst_unused:UNUSED_PAD src0_sel:DWORD src1_sel:WORD_0
	s_barrier
	buffer_gl0_inv
	v_lshrrev_b32_e32 v8, 17, v26
	s_clause 0x1
	global_load_dwordx4 v[26:29], v27, s[8:9]
	global_load_dwordx4 v[61:64], v40, s[8:9]
	v_mul_u32_u24_sdwa v40, v48, v53 dst_sel:DWORD dst_unused:UNUSED_PAD src0_sel:WORD_0 src1_sel:DWORD
	v_add_nc_u32_e32 v49, 0xfc, v95
	v_add_nc_u32_e32 v96, 0xbd, v95
	v_mul_lo_u16 v41, v8, 3
	v_add_nc_u32_e32 v55, 0x7e, v95
	v_lshrrev_b32_e32 v117, 17, v40
	v_mul_u32_u24_sdwa v40, v49, v53 dst_sel:DWORD dst_unused:UNUSED_PAD src0_sel:WORD_0 src1_sel:DWORD
	v_and_b32_e32 v56, 0xff, v96
	v_sub_nc_u16 v80, v51, v41
	v_and_b32_e32 v54, 0xff, v55
	v_add_nc_u32_e32 v53, 63, v95
	v_lshrrev_b32_e32 v118, 17, v40
	v_mul_lo_u16 v47, 0xab, v56
	v_lshlrev_b32_sdwa v41, v45, v80 dst_sel:DWORD dst_unused:UNUSED_PAD src0_sel:DWORD src1_sel:WORD_0
	v_mov_b32_e32 v129, 36
	v_mul_u32_u24_e32 v8, 36, v8
	v_mul_lo_u16 v40, v118, 3
	v_lshrrev_b16 v121, 9, v47
	global_load_dwordx4 v[65:68], v41, s[8:9]
	v_mov_b32_e32 v133, 0x6c
	v_cmp_gt_u32_e64 s0, 18, v95
	v_sub_nc_u16 v120, v49, v40
	v_mul_lo_u16 v58, v121, 3
	v_and_b32_e32 v40, 0xff, v53
	v_lshlrev_b32_sdwa v47, v45, v120 dst_sel:DWORD dst_unused:UNUSED_PAD src0_sel:DWORD src1_sel:WORD_0
	v_sub_nc_u16 v124, v96, v58
	v_mul_lo_u16 v57, 0xab, v40
	global_load_dwordx4 v[73:76], v47, s[8:9]
	v_mul_lo_u16 v41, v117, 3
	v_lshlrev_b32_sdwa v58, v45, v124 dst_sel:DWORD dst_unused:UNUSED_PAD src0_sel:DWORD src1_sel:BYTE_0
	v_lshrrev_b16 v123, 9, v57
	v_sub_nc_u16 v119, v48, v41
	global_load_dwordx4 v[87:90], v58, s[8:9]
	v_lshlrev_b32_sdwa v41, v45, v119 dst_sel:DWORD dst_unused:UNUSED_PAD src0_sel:DWORD src1_sel:WORD_0
	global_load_dwordx4 v[69:72], v41, s[8:9]
	v_mul_lo_u16 v41, 0xab, v54
	v_lshrrev_b16 v122, 9, v41
	v_and_b32_e32 v41, 0xff, v95
	v_mul_lo_u16 v47, v122, 3
	v_mul_lo_u16 v57, 0xab, v41
	v_sub_nc_u16 v125, v55, v47
	v_mul_lo_u16 v47, v123, 3
	v_lshrrev_b16 v126, 9, v57
	v_lshlrev_b32_sdwa v57, v45, v125 dst_sel:DWORD dst_unused:UNUSED_PAD src0_sel:DWORD src1_sel:BYTE_0
	v_sub_nc_u16 v127, v53, v47
	v_mul_lo_u16 v47, v126, 3
	global_load_dwordx4 v[91:94], v57, s[8:9]
	v_sub_nc_u16 v128, v95, v47
	v_lshlrev_b32_sdwa v47, v45, v128 dst_sel:DWORD dst_unused:UNUSED_PAD src0_sel:DWORD src1_sel:BYTE_0
	global_load_dwordx4 v[101:104], v47, s[8:9]
	v_lshlrev_b32_sdwa v57, v45, v127 dst_sel:DWORD dst_unused:UNUSED_PAD src0_sel:DWORD src1_sel:BYTE_0
	v_mov_b32_e32 v47, 2
	global_load_dwordx4 v[97:100], v57, s[8:9]
	ds_read_b32 v113, v30 offset:6552
	ds_read2_b32 v[77:78], v82 offset0:112 offset1:175
	ds_read2_b32 v[105:106], v60 offset0:104 offset1:167
	;; [unrolled: 1-line block ×6, first 2 shown]
	v_lshlrev_b32_sdwa v6, v47, v6 dst_sel:DWORD dst_unused:UNUSED_PAD src0_sel:DWORD src1_sel:WORD_0
	s_waitcnt vmcnt(8) lgkmcnt(6)
	v_mul_f32_e32 v58, v113, v29
	v_mul_f32_e32 v57, v7, v29
	s_waitcnt lgkmcnt(5)
	v_mul_f32_e32 v114, v78, v27
	v_mul_f32_e32 v59, v35, v27
	s_waitcnt vmcnt(7)
	v_mul_f32_e32 v130, v33, v64
	v_fma_f32 v58, v7, v28, -v58
	v_mul_f32_e32 v7, v77, v62
	v_fma_f32 v35, v35, v26, -v114
	v_fmac_f32_e32 v59, v78, v26
	v_fmac_f32_e32 v57, v113, v28
	ds_read2_b32 v[113:114], v83 offset0:108 offset1:171
	v_fma_f32 v131, v34, v61, -v7
	v_mul_f32_e32 v78, v34, v62
	s_waitcnt lgkmcnt(5)
	v_mul_f32_e32 v26, v106, v64
	v_fmac_f32_e32 v130, v106, v63
	v_mul_u32_u24_sdwa v29, v123, v129 dst_sel:DWORD dst_unused:UNUSED_PAD src0_sel:WORD_0 src1_sel:DWORD
	v_mul_u32_u24_sdwa v28, v126, v129 dst_sel:DWORD dst_unused:UNUSED_PAD src0_sel:WORD_0 src1_sel:DWORD
	v_fmac_f32_e32 v78, v77, v61
	v_fma_f32 v77, v33, v63, -v26
	ds_read2_b32 v[33:34], v52 offset0:110 offset1:173
	s_waitcnt vmcnt(6)
	v_mul_f32_e32 v7, v105, v68
	v_mul_f32_e32 v68, v32, v68
	ds_read2_b32 v[26:27], v79 offset0:120 offset1:183
	ds_read2_b32 v[61:62], v30 offset1:63
	ds_read2_b32 v[63:64], v30 offset0:126 offset1:189
	v_fma_f32 v32, v32, v67, -v7
	s_waitcnt lgkmcnt(8)
	v_mul_f32_e32 v7, v108, v66
	v_fmac_f32_e32 v68, v105, v67
	v_mul_f32_e32 v67, v25, v66
	v_lshlrev_b32_sdwa v66, v47, v128 dst_sel:DWORD dst_unused:UNUSED_PAD src0_sel:DWORD src1_sel:BYTE_0
	v_lshlrev_b32_sdwa v105, v47, v127 dst_sel:DWORD dst_unused:UNUSED_PAD src0_sel:DWORD src1_sel:BYTE_0
	v_fma_f32 v106, v25, v65, -v7
	v_fmac_f32_e32 v67, v108, v65
	v_add3_u32 v108, 0, v28, v66
	v_add3_u32 v105, 0, v29, v105
	ds_read2_b32 v[65:66], v50 offset0:124 offset1:187
	ds_read2_b32 v[28:29], v86 offset0:122 offset1:185
	s_waitcnt vmcnt(0) lgkmcnt(0)
	s_barrier
	buffer_gl0_inv
	v_mul_f32_e32 v7, v107, v70
	v_mul_f32_e32 v70, v24, v70
	v_fma_f32 v123, v24, v69, -v7
	v_mul_f32_e32 v7, v110, v72
	v_mul_f32_e32 v72, v23, v72
	v_fmac_f32_e32 v70, v107, v69
	v_fma_f32 v69, v23, v71, -v7
	v_fmac_f32_e32 v72, v110, v71
	v_mul_f32_e32 v7, v109, v76
	v_mul_f32_e32 v71, v22, v76
	;; [unrolled: 1-line block ×4, first 2 shown]
	v_fma_f32 v76, v22, v75, -v7
	v_fmac_f32_e32 v71, v109, v75
	v_fma_f32 v75, v21, v73, -v23
	v_fmac_f32_e32 v74, v112, v73
	v_mul_f32_e32 v7, v111, v88
	v_mul_f32_e32 v73, v20, v88
	;; [unrolled: 1-line block ×6, first 2 shown]
	v_fma_f32 v94, v20, v87, -v7
	v_fmac_f32_e32 v73, v111, v87
	v_mul_f32_e32 v23, v116, v92
	v_mul_f32_e32 v92, v17, v92
	v_fmac_f32_e32 v88, v114, v89
	v_fmac_f32_e32 v90, v113, v93
	;; [unrolled: 1-line block ×3, first 2 shown]
	v_mul_f32_e32 v24, v27, v102
	v_mul_f32_e32 v25, v1, v102
	v_fma_f32 v1, v1, v101, -v24
	v_mul_f32_e32 v20, v34, v100
	v_mul_f32_e32 v87, v15, v100
	v_fma_f32 v100, v19, v89, -v21
	v_mul_f32_e32 v19, v33, v104
	v_mul_f32_e32 v7, v115, v98
	;; [unrolled: 1-line block ×4, first 2 shown]
	v_fmac_f32_e32 v25, v27, v101
	v_fma_f32 v14, v14, v103, -v19
	v_fma_f32 v102, v16, v97, -v7
	v_fmac_f32_e32 v21, v33, v103
	v_fma_f32 v33, v15, v99, -v20
	v_fmac_f32_e32 v98, v115, v97
	v_add_f32_e32 v7, v1, v14
	v_fmac_f32_e32 v87, v34, v99
	v_add_f32_e32 v15, v12, v1
	v_sub_f32_e32 v16, v25, v21
	v_fma_f32 v89, v18, v93, -v22
	v_fma_f32 v7, -0.5, v7, v12
	v_add_f32_e32 v12, v102, v33
	v_fma_f32 v93, v17, v91, -v23
	v_add_f32_e32 v17, v13, v102
	v_sub_f32_e32 v18, v98, v87
	v_add_f32_e32 v15, v15, v14
	v_fmamk_f32 v19, v16, 0x3f5db3d7, v7
	v_fmac_f32_e32 v13, -0.5, v12
	v_fmac_f32_e32 v7, 0xbf5db3d7, v16
	v_add_f32_e32 v12, v17, v33
	ds_write2_b32 v108, v15, v19 offset1:3
	ds_write_b32 v108, v7 offset:24
	v_fmamk_f32 v7, v18, 0x3f5db3d7, v13
	v_add_f32_e32 v15, v93, v89
	v_fmac_f32_e32 v13, 0xbf5db3d7, v18
	v_mul_u32_u24_sdwa v16, v122, v129 dst_sel:DWORD dst_unused:UNUSED_PAD src0_sel:WORD_0 src1_sel:DWORD
	v_lshlrev_b32_sdwa v17, v47, v125 dst_sel:DWORD dst_unused:UNUSED_PAD src0_sel:DWORD src1_sel:BYTE_0
	v_add_f32_e32 v18, v9, v93
	v_fma_f32 v9, -0.5, v15, v9
	v_sub_f32_e32 v15, v92, v90
	ds_write2_b32 v105, v12, v7 offset1:3
	ds_write_b32 v105, v13 offset:24
	v_add_f32_e32 v13, v94, v100
	v_add3_u32 v34, 0, v16, v17
	v_add_f32_e32 v7, v18, v89
	v_fmamk_f32 v12, v15, 0x3f5db3d7, v9
	v_fmac_f32_e32 v9, 0xbf5db3d7, v15
	v_add_f32_e32 v15, v10, v94
	v_mul_u32_u24_sdwa v16, v121, v129 dst_sel:DWORD dst_unused:UNUSED_PAD src0_sel:WORD_0 src1_sel:DWORD
	v_lshlrev_b32_sdwa v17, v47, v124 dst_sel:DWORD dst_unused:UNUSED_PAD src0_sel:DWORD src1_sel:BYTE_0
	v_fmac_f32_e32 v10, -0.5, v13
	v_sub_f32_e32 v13, v73, v88
	ds_write2_b32 v34, v7, v12 offset1:3
	ds_write_b32 v34, v9 offset:24
	v_add_f32_e32 v7, v15, v100
	v_add3_u32 v91, 0, v16, v17
	v_mul_u32_u24_e32 v12, 36, v118
	v_fmamk_f32 v9, v13, 0x3f5db3d7, v10
	v_fmac_f32_e32 v10, 0xbf5db3d7, v13
	v_lshlrev_b32_sdwa v13, v47, v120 dst_sel:DWORD dst_unused:UNUSED_PAD src0_sel:DWORD src1_sel:WORD_0
	v_add_f32_e32 v15, v4, v75
	v_add_f32_e32 v16, v75, v76
	ds_write2_b32 v91, v7, v9 offset1:3
	ds_write_b32 v91, v10 offset:24
	v_add_f32_e32 v10, v123, v69
	v_add3_u32 v97, 0, v12, v13
	v_mul_u32_u24_e32 v12, 36, v117
	v_lshlrev_b32_sdwa v13, v47, v119 dst_sel:DWORD dst_unused:UNUSED_PAD src0_sel:DWORD src1_sel:WORD_0
	v_add_f32_e32 v7, v15, v76
	v_fma_f32 v4, -0.5, v16, v4
	v_sub_f32_e32 v9, v74, v71
	v_add_f32_e32 v15, v5, v123
	v_fmac_f32_e32 v5, -0.5, v10
	v_add_f32_e32 v10, v106, v32
	v_add3_u32 v99, 0, v12, v13
	v_sub_f32_e32 v12, v70, v72
	v_fmamk_f32 v16, v9, 0x3f5db3d7, v4
	v_fmac_f32_e32 v4, 0xbf5db3d7, v9
	v_add_f32_e32 v9, v15, v69
	v_lshlrev_b32_sdwa v13, v47, v80 dst_sel:DWORD dst_unused:UNUSED_PAD src0_sel:DWORD src1_sel:WORD_0
	v_add_f32_e32 v15, v2, v106
	v_fma_f32 v2, -0.5, v10, v2
	v_sub_f32_e32 v10, v67, v68
	v_fmamk_f32 v17, v12, 0x3f5db3d7, v5
	v_fmac_f32_e32 v5, 0xbf5db3d7, v12
	v_add3_u32 v80, 0, v8, v13
	v_add_f32_e32 v8, v15, v32
	v_fmamk_f32 v12, v10, 0x3f5db3d7, v2
	ds_write2_b32 v97, v7, v16 offset1:3
	ds_write_b32 v97, v4 offset:24
	ds_write2_b32 v99, v9, v17 offset1:3
	ds_write_b32 v99, v5 offset:24
	ds_write2_b32 v80, v8, v12 offset1:3
	v_add_f32_e32 v4, v131, v77
	v_mul_u32_u24_e32 v5, 36, v11
	v_add_f32_e32 v7, v3, v131
	v_fmac_f32_e32 v2, 0xbf5db3d7, v10
	v_mul_u32_u24_e32 v8, 36, v42
	v_fmac_f32_e32 v3, -0.5, v4
	v_sub_f32_e32 v4, v78, v130
	v_add3_u32 v101, 0, v5, v6
	v_add_f32_e32 v5, v35, v58
	ds_write_b32 v80, v2 offset:24
	v_add_f32_e32 v2, v7, v77
	v_fmamk_f32 v6, v4, 0x3f5db3d7, v3
	v_fmac_f32_e32 v3, 0xbf5db3d7, v4
	v_add_f32_e32 v7, v0, v35
	v_fmac_f32_e32 v0, -0.5, v5
	v_sub_f32_e32 v5, v59, v57
	v_lshlrev_b32_sdwa v9, v47, v43 dst_sel:DWORD dst_unused:UNUSED_PAD src0_sel:DWORD src1_sel:WORD_0
	ds_write_b32 v101, v3 offset:24
	v_add_f32_e32 v3, v25, v21
	v_sub_f32_e32 v103, v1, v14
	v_fmamk_f32 v4, v5, 0x3f5db3d7, v0
	v_fmac_f32_e32 v0, 0xbf5db3d7, v5
	v_add_f32_e32 v5, v61, v25
	v_fma_f32 v61, -0.5, v3, v61
	v_add_f32_e32 v104, v98, v87
	ds_write2_b32 v101, v2, v6 offset1:3
	v_add3_u32 v42, 0, v8, v9
	v_add_f32_e32 v2, v7, v58
	v_add_f32_e32 v43, v5, v21
	v_fmamk_f32 v107, v103, 0xbf5db3d7, v61
	v_add_f32_e32 v98, v62, v98
	v_fmac_f32_e32 v61, 0x3f5db3d7, v103
	v_fmac_f32_e32 v62, -0.5, v104
	v_sub_f32_e32 v33, v102, v33
	ds_write2_b32 v42, v2, v4 offset1:3
	ds_write_b32 v42, v0 offset:24
	s_waitcnt lgkmcnt(0)
	s_barrier
	buffer_gl0_inv
	ds_read_b32 v27, v30 offset:6552
	ds_read2_b32 v[8:9], v30 offset1:63
	ds_read2_b32 v[0:1], v79 offset0:120 offset1:183
	ds_read2_b32 v[10:11], v52 offset0:110 offset1:173
	;; [unrolled: 1-line block ×12, first 2 shown]
	s_waitcnt lgkmcnt(0)
	s_barrier
	buffer_gl0_inv
	ds_write2_b32 v108, v43, v107 offset1:3
	ds_write_b32 v108, v61 offset:24
	v_add_f32_e32 v43, v98, v87
	v_add_f32_e32 v87, v92, v90
	v_fmamk_f32 v61, v33, 0xbf5db3d7, v62
	v_fmac_f32_e32 v62, 0x3f5db3d7, v33
	v_add_f32_e32 v33, v73, v88
	v_add_f32_e32 v92, v63, v92
	v_sub_f32_e32 v89, v93, v89
	v_fma_f32 v63, -0.5, v87, v63
	v_add_f32_e32 v73, v64, v73
	v_fmac_f32_e32 v64, -0.5, v33
	v_sub_f32_e32 v33, v94, v100
	v_add_f32_e32 v87, v92, v90
	v_fmamk_f32 v90, v89, 0xbf5db3d7, v63
	v_fmac_f32_e32 v63, 0x3f5db3d7, v89
	v_add_f32_e32 v73, v73, v88
	v_fmamk_f32 v88, v33, 0xbf5db3d7, v64
	ds_write2_b32 v105, v43, v61 offset1:3
	ds_write_b32 v105, v62 offset:24
	ds_write2_b32 v34, v87, v90 offset1:3
	ds_write_b32 v34, v63 offset:24
	ds_write2_b32 v91, v73, v88 offset1:3
	v_add_f32_e32 v34, v74, v71
	v_fmac_f32_e32 v64, 0x3f5db3d7, v33
	v_add_f32_e32 v33, v70, v72
	v_sub_f32_e32 v61, v75, v76
	v_add_f32_e32 v62, v66, v70
	v_fma_f32 v34, -0.5, v34, v65
	v_add_f32_e32 v43, v65, v74
	v_fmac_f32_e32 v66, -0.5, v33
	v_sub_f32_e32 v33, v123, v69
	v_sub_f32_e32 v32, v106, v32
	v_fmamk_f32 v63, v61, 0xbf5db3d7, v34
	v_fmac_f32_e32 v34, 0x3f5db3d7, v61
	v_add_f32_e32 v61, v62, v72
	v_fmamk_f32 v62, v33, 0xbf5db3d7, v66
	v_fmac_f32_e32 v66, 0x3f5db3d7, v33
	v_add_f32_e32 v33, v67, v68
	v_add_f32_e32 v43, v43, v71
	ds_write_b32 v91, v64 offset:24
	ds_write2_b32 v97, v43, v63 offset1:3
	ds_write_b32 v97, v34 offset:24
	ds_write2_b32 v99, v61, v62 offset1:3
	v_add_f32_e32 v34, v28, v67
	v_fma_f32 v28, -0.5, v33, v28
	v_add_f32_e32 v43, v78, v130
	ds_write_b32 v99, v66 offset:24
	v_add_f32_e32 v33, v34, v68
	v_fmamk_f32 v61, v32, 0xbf5db3d7, v28
	v_add_f32_e32 v34, v29, v78
	v_fmac_f32_e32 v29, -0.5, v43
	v_sub_f32_e32 v43, v131, v77
	v_fmac_f32_e32 v28, 0x3f5db3d7, v32
	ds_write2_b32 v80, v33, v61 offset1:3
	v_add_f32_e32 v33, v59, v57
	v_add_f32_e32 v34, v34, v130
	v_fmamk_f32 v62, v43, 0xbf5db3d7, v29
	v_mov_b32_e32 v32, 0xe38f
	ds_write_b32 v80, v28 offset:24
	ds_write2_b32 v101, v34, v62 offset1:3
	v_add_f32_e32 v28, v26, v59
	v_fmac_f32_e32 v26, -0.5, v33
	v_sub_f32_e32 v34, v35, v58
	v_mul_u32_u24_sdwa v61, v31, v32 dst_sel:DWORD dst_unused:UNUSED_PAD src0_sel:WORD_0 src1_sel:DWORD
	v_fmac_f32_e32 v29, 0x3f5db3d7, v43
	v_mul_u32_u24_sdwa v35, v46, v32 dst_sel:DWORD dst_unused:UNUSED_PAD src0_sel:WORD_0 src1_sel:DWORD
	v_add_f32_e32 v28, v28, v57
	v_fmamk_f32 v58, v34, 0xbf5db3d7, v26
	v_lshrrev_b32_e32 v33, 19, v61
	ds_write_b32 v101, v29 offset:24
	v_lshrrev_b32_e32 v63, 19, v35
	v_fmac_f32_e32 v26, 0x3f5db3d7, v34
	ds_write2_b32 v42, v28, v58 offset1:3
	v_mul_u32_u24_sdwa v28, v51, v32 dst_sel:DWORD dst_unused:UNUSED_PAD src0_sel:WORD_0 src1_sel:DWORD
	v_mul_lo_u16 v43, v33, 9
	v_mul_lo_u16 v29, v63, 9
	ds_write_b32 v42, v26 offset:24
	s_waitcnt lgkmcnt(0)
	v_lshrrev_b32_e32 v78, 19, v28
	v_sub_nc_u16 v57, v31, v43
	v_sub_nc_u16 v26, v46, v29
	s_barrier
	buffer_gl0_inv
	v_mul_lo_u16 v28, v78, 9
	v_lshlrev_b32_sdwa v34, v45, v57 dst_sel:DWORD dst_unused:UNUSED_PAD src0_sel:DWORD src1_sel:WORD_0
	v_lshlrev_b32_sdwa v29, v45, v26 dst_sel:DWORD dst_unused:UNUSED_PAD src0_sel:DWORD src1_sel:WORD_0
	v_sub_nc_u16 v80, v51, v28
	v_mul_u32_u24_sdwa v28, v49, v32 dst_sel:DWORD dst_unused:UNUSED_PAD src0_sel:WORD_0 src1_sel:DWORD
	s_clause 0x1
	global_load_dwordx4 v[64:67], v34, s[8:9] offset:48
	global_load_dwordx4 v[68:71], v29, s[8:9] offset:48
	v_mul_u32_u24_sdwa v34, v48, v32 dst_sel:DWORD dst_unused:UNUSED_PAD src0_sel:WORD_0 src1_sel:DWORD
	v_lshlrev_b32_sdwa v29, v45, v80 dst_sel:DWORD dst_unused:UNUSED_PAD src0_sel:DWORD src1_sel:WORD_0
	v_lshrrev_b32_e32 v122, 19, v28
	v_mul_lo_u16 v28, v56, 57
	v_lshrrev_b32_e32 v121, 19, v34
	global_load_dwordx4 v[72:75], v29, s[8:9] offset:48
	v_mul_lo_u16 v29, v122, 9
	v_lshrrev_b16 v124, 9, v28
	v_mul_lo_u16 v28, v54, 57
	v_mul_lo_u16 v32, v121, 9
	v_sub_nc_u16 v125, v49, v29
	v_mul_lo_u16 v29, v124, 9
	v_lshrrev_b16 v126, 9, v28
	v_mul_lo_u16 v28, v40, 57
	v_sub_nc_u16 v123, v48, v32
	v_sub_nc_u16 v127, v96, v29
	v_mul_lo_u16 v29, v126, 9
	v_lshrrev_b16 v128, 9, v28
	v_mul_lo_u16 v28, v41, 57
	v_lshlrev_b32_sdwa v32, v45, v123 dst_sel:DWORD dst_unused:UNUSED_PAD src0_sel:DWORD src1_sel:WORD_0
	v_sub_nc_u16 v129, v55, v29
	v_mul_lo_u16 v29, v128, 9
	v_lshrrev_b16 v130, 9, v28
	global_load_dwordx4 v[87:90], v32, s[8:9] offset:48
	v_lshlrev_b32_sdwa v28, v45, v129 dst_sel:DWORD dst_unused:UNUSED_PAD src0_sel:DWORD src1_sel:BYTE_0
	v_sub_nc_u16 v131, v53, v29
	v_mul_lo_u16 v29, v130, 9
	global_load_dwordx4 v[101:104], v28, s[8:9] offset:48
	v_lshlrev_b32_sdwa v32, v45, v125 dst_sel:DWORD dst_unused:UNUSED_PAD src0_sel:DWORD src1_sel:WORD_0
	v_lshlrev_b32_sdwa v28, v45, v131 dst_sel:DWORD dst_unused:UNUSED_PAD src0_sel:DWORD src1_sel:BYTE_0
	v_sub_nc_u16 v132, v95, v29
	s_clause 0x1
	global_load_dwordx4 v[91:94], v32, s[8:9] offset:48
	global_load_dwordx4 v[105:108], v28, s[8:9] offset:48
	v_lshlrev_b32_sdwa v32, v45, v127 dst_sel:DWORD dst_unused:UNUSED_PAD src0_sel:DWORD src1_sel:BYTE_0
	v_lshlrev_b32_sdwa v28, v45, v132 dst_sel:DWORD dst_unused:UNUSED_PAD src0_sel:DWORD src1_sel:BYTE_0
	s_clause 0x1
	global_load_dwordx4 v[97:100], v32, s[8:9] offset:48
	global_load_dwordx4 v[109:112], v28, s[8:9] offset:48
	ds_read_b32 v42, v30 offset:6552
	ds_read2_b32 v[28:29], v82 offset0:112 offset1:175
	ds_read2_b32 v[76:77], v60 offset0:104 offset1:167
	;; [unrolled: 1-line block ×6, first 2 shown]
	s_waitcnt vmcnt(8) lgkmcnt(6)
	v_mul_f32_e32 v34, v42, v67
	v_mul_f32_e32 v32, v27, v67
	s_waitcnt lgkmcnt(5)
	v_mul_f32_e32 v43, v29, v65
	v_mul_f32_e32 v35, v25, v65
	s_waitcnt vmcnt(7)
	v_mul_f32_e32 v58, v24, v69
	v_fma_f32 v34, v27, v66, -v34
	v_mul_f32_e32 v27, v28, v69
	v_fmac_f32_e32 v32, v42, v66
	v_fma_f32 v42, v25, v64, -v43
	s_waitcnt lgkmcnt(4)
	v_mul_f32_e32 v25, v77, v71
	v_mul_f32_e32 v43, v23, v71
	v_fma_f32 v59, v24, v68, -v27
	v_fmac_f32_e32 v58, v28, v68
	ds_read2_b32 v[27:28], v52 offset0:110 offset1:173
	v_fma_f32 v61, v23, v70, -v25
	ds_read2_b32 v[23:24], v79 offset0:120 offset1:183
	v_fmac_f32_e32 v35, v29, v64
	ds_read2_b32 v[66:67], v83 offset0:108 offset1:171
	s_waitcnt vmcnt(6)
	v_mul_f32_e32 v29, v76, v75
	v_mul_f32_e32 v62, v22, v75
	s_waitcnt lgkmcnt(6)
	v_mul_f32_e32 v25, v114, v73
	v_mul_f32_e32 v64, v21, v73
	v_fmac_f32_e32 v43, v77, v70
	v_fma_f32 v22, v22, v74, -v29
	v_fmac_f32_e32 v62, v76, v74
	v_fma_f32 v65, v21, v72, -v25
	v_fmac_f32_e32 v64, v114, v72
	s_waitcnt vmcnt(5)
	v_mul_f32_e32 v29, v113, v88
	v_mul_f32_e32 v73, v20, v88
	s_waitcnt lgkmcnt(5)
	v_mul_f32_e32 v21, v116, v90
	v_mul_f32_e32 v72, v19, v90
	v_fma_f32 v75, v20, v87, -v29
	v_fmac_f32_e32 v73, v113, v87
	v_fma_f32 v87, v19, v89, -v21
	s_waitcnt vmcnt(4) lgkmcnt(0)
	v_mul_f32_e32 v21, v66, v104
	v_fmac_f32_e32 v72, v116, v89
	v_mul_f32_e32 v89, v14, v104
	s_waitcnt vmcnt(3)
	v_mul_f32_e32 v25, v115, v94
	v_mul_f32_e32 v20, v118, v92
	;; [unrolled: 1-line block ×5, first 2 shown]
	v_fma_f32 v90, v18, v93, -v25
	v_mul_f32_e32 v18, v120, v102
	s_waitcnt vmcnt(2)
	v_mul_f32_e32 v25, v119, v106
	v_fma_f32 v94, v17, v91, -v20
	v_mul_f32_e32 v17, v28, v108
	s_waitcnt vmcnt(0)
	v_mul_f32_e32 v20, v27, v112
	v_mul_f32_e32 v68, v24, v110
	;; [unrolled: 1-line block ×6, first 2 shown]
	v_fmac_f32_e32 v74, v115, v93
	v_mul_f32_e32 v93, v12, v106
	v_fmac_f32_e32 v76, v118, v91
	v_mul_f32_e32 v91, v11, v108
	v_fma_f32 v100, v13, v101, -v18
	v_fmac_f32_e32 v92, v120, v101
	v_fma_f32 v101, v12, v105, -v25
	v_fma_f32 v102, v11, v107, -v17
	;; [unrolled: 1-line block ×4, first 2 shown]
	v_mul_f32_e32 v10, v10, v112
	v_mul_f32_e32 v1, v1, v110
	v_fma_f32 v98, v16, v97, -v29
	v_fmac_f32_e32 v77, v117, v97
	v_fma_f32 v97, v15, v99, -v19
	v_fmac_f32_e32 v88, v67, v99
	v_fma_f32 v99, v14, v103, -v21
	v_mul_u32_u24_sdwa v13, v130, v133 dst_sel:DWORD dst_unused:UNUSED_PAD src0_sel:WORD_0 src1_sel:DWORD
	v_lshlrev_b32_sdwa v14, v47, v132 dst_sel:DWORD dst_unused:UNUSED_PAD src0_sel:DWORD src1_sel:BYTE_0
	v_add_f32_e32 v16, v12, v11
	v_fmac_f32_e32 v10, v27, v111
	v_fmac_f32_e32 v1, v24, v109
	;; [unrolled: 1-line block ×5, first 2 shown]
	v_add_f32_e32 v15, v8, v12
	v_add3_u32 v103, 0, v13, v14
	v_fma_f32 v8, -0.5, v16, v8
	v_sub_f32_e32 v14, v1, v10
	v_add_f32_e32 v16, v101, v102
	v_add_f32_e32 v13, v15, v11
	v_mul_u32_u24_sdwa v17, v128, v133 dst_sel:DWORD dst_unused:UNUSED_PAD src0_sel:WORD_0 src1_sel:DWORD
	v_lshlrev_b32_sdwa v18, v47, v131 dst_sel:DWORD dst_unused:UNUSED_PAD src0_sel:DWORD src1_sel:BYTE_0
	v_fmamk_f32 v15, v14, 0x3f5db3d7, v8
	v_fmac_f32_e32 v8, 0xbf5db3d7, v14
	v_add_f32_e32 v14, v9, v101
	v_fmac_f32_e32 v9, -0.5, v16
	v_sub_f32_e32 v16, v93, v91
	ds_read2_b32 v[66:67], v30 offset1:63
	ds_read2_b32 v[68:69], v30 offset0:126 offset1:189
	ds_read2_b32 v[70:71], v50 offset0:124 offset1:187
	;; [unrolled: 1-line block ×3, first 2 shown]
	s_waitcnt lgkmcnt(0)
	s_barrier
	buffer_gl0_inv
	ds_write2_b32 v103, v13, v15 offset1:9
	ds_write_b32 v103, v8 offset:72
	v_add3_u32 v104, 0, v17, v18
	v_add_f32_e32 v8, v14, v102
	v_fmamk_f32 v13, v16, 0x3f5db3d7, v9
	v_add_f32_e32 v14, v100, v99
	v_fmac_f32_e32 v9, 0xbf5db3d7, v16
	v_mul_u32_u24_sdwa v15, v126, v133 dst_sel:DWORD dst_unused:UNUSED_PAD src0_sel:WORD_0 src1_sel:DWORD
	v_lshlrev_b32_sdwa v16, v47, v129 dst_sel:DWORD dst_unused:UNUSED_PAD src0_sel:DWORD src1_sel:BYTE_0
	v_add_f32_e32 v17, v6, v100
	v_fma_f32 v6, -0.5, v14, v6
	v_sub_f32_e32 v14, v92, v89
	ds_write2_b32 v104, v8, v13 offset1:9
	ds_write_b32 v104, v9 offset:72
	v_add_f32_e32 v13, v98, v97
	v_add3_u32 v105, 0, v15, v16
	v_add_f32_e32 v8, v17, v99
	v_fmamk_f32 v9, v14, 0x3f5db3d7, v6
	v_fmac_f32_e32 v6, 0xbf5db3d7, v14
	v_add_f32_e32 v14, v7, v98
	v_mul_u32_u24_sdwa v15, v124, v133 dst_sel:DWORD dst_unused:UNUSED_PAD src0_sel:WORD_0 src1_sel:DWORD
	v_lshlrev_b32_sdwa v16, v47, v127 dst_sel:DWORD dst_unused:UNUSED_PAD src0_sel:DWORD src1_sel:BYTE_0
	v_fmac_f32_e32 v7, -0.5, v13
	v_sub_f32_e32 v13, v77, v88
	ds_write2_b32 v105, v8, v9 offset1:9
	ds_write_b32 v105, v6 offset:72
	v_add_f32_e32 v6, v14, v97
	v_add3_u32 v106, 0, v15, v16
	v_mul_u32_u24_e32 v9, 0x6c, v122
	v_fmamk_f32 v8, v13, 0x3f5db3d7, v7
	v_fmac_f32_e32 v7, 0xbf5db3d7, v13
	v_lshlrev_b32_sdwa v13, v47, v125 dst_sel:DWORD dst_unused:UNUSED_PAD src0_sel:DWORD src1_sel:WORD_0
	v_add_f32_e32 v14, v4, v94
	v_add_f32_e32 v15, v94, v90
	ds_write2_b32 v106, v6, v8 offset1:9
	ds_write_b32 v106, v7 offset:72
	v_add_f32_e32 v8, v75, v87
	v_add3_u32 v107, 0, v9, v13
	v_mul_u32_u24_e32 v9, 0x6c, v121
	v_lshlrev_b32_sdwa v13, v47, v123 dst_sel:DWORD dst_unused:UNUSED_PAD src0_sel:DWORD src1_sel:WORD_0
	v_add_f32_e32 v6, v14, v90
	v_fma_f32 v4, -0.5, v15, v4
	v_sub_f32_e32 v7, v76, v74
	v_add_f32_e32 v14, v5, v75
	v_fmac_f32_e32 v5, -0.5, v8
	v_add_f32_e32 v8, v65, v22
	v_add3_u32 v108, 0, v9, v13
	v_sub_f32_e32 v9, v73, v72
	v_fmamk_f32 v15, v7, 0x3f5db3d7, v4
	v_fmac_f32_e32 v4, 0xbf5db3d7, v7
	v_add_f32_e32 v7, v14, v87
	v_mul_u32_u24_e32 v13, 0x6c, v78
	v_lshlrev_b32_sdwa v14, v47, v80 dst_sel:DWORD dst_unused:UNUSED_PAD src0_sel:DWORD src1_sel:WORD_0
	v_add_f32_e32 v16, v2, v65
	v_fma_f32 v2, -0.5, v8, v2
	v_sub_f32_e32 v8, v64, v62
	v_fmamk_f32 v17, v9, 0x3f5db3d7, v5
	v_fmac_f32_e32 v5, 0xbf5db3d7, v9
	v_add3_u32 v78, 0, v13, v14
	v_add_f32_e32 v9, v16, v22
	v_fmamk_f32 v13, v8, 0x3f5db3d7, v2
	ds_write2_b32 v107, v6, v15 offset1:9
	ds_write_b32 v107, v4 offset:72
	ds_write2_b32 v108, v7, v17 offset1:9
	ds_write_b32 v108, v5 offset:72
	ds_write2_b32 v78, v9, v13 offset1:9
	v_mul_u32_u24_e32 v5, 0x6c, v63
	v_lshlrev_b32_sdwa v6, v47, v26 dst_sel:DWORD dst_unused:UNUSED_PAD src0_sel:DWORD src1_sel:WORD_0
	v_add_f32_e32 v4, v59, v61
	v_fmac_f32_e32 v2, 0xbf5db3d7, v8
	v_add_f32_e32 v7, v3, v59
	v_mul_u32_u24_e32 v8, 0x6c, v33
	v_add3_u32 v63, 0, v5, v6
	v_add_f32_e32 v5, v42, v34
	v_fmac_f32_e32 v3, -0.5, v4
	v_sub_f32_e32 v4, v58, v43
	ds_write_b32 v78, v2 offset:72
	v_add_f32_e32 v2, v7, v61
	v_add_f32_e32 v7, v0, v42
	v_fmac_f32_e32 v0, -0.5, v5
	v_sub_f32_e32 v5, v35, v32
	v_fmamk_f32 v6, v4, 0x3f5db3d7, v3
	v_fmac_f32_e32 v3, 0xbf5db3d7, v4
	v_lshlrev_b32_sdwa v9, v47, v57 dst_sel:DWORD dst_unused:UNUSED_PAD src0_sel:DWORD src1_sel:WORD_0
	v_sub_f32_e32 v109, v12, v11
	v_fmamk_f32 v4, v5, 0x3f5db3d7, v0
	v_fmac_f32_e32 v0, 0xbf5db3d7, v5
	v_add_f32_e32 v5, v66, v1
	v_add_f32_e32 v1, v1, v10
	;; [unrolled: 1-line block ×3, first 2 shown]
	ds_write2_b32 v63, v2, v6 offset1:9
	v_add3_u32 v80, 0, v8, v9
	v_add_f32_e32 v2, v7, v34
	v_fma_f32 v66, -0.5, v1, v66
	v_add_f32_e32 v33, v5, v10
	v_add_f32_e32 v93, v67, v93
	v_fmac_f32_e32 v67, -0.5, v110
	v_sub_f32_e32 v101, v101, v102
	v_fmamk_f32 v111, v109, 0xbf5db3d7, v66
	v_fmac_f32_e32 v66, 0x3f5db3d7, v109
	ds_write_b32 v63, v3 offset:72
	ds_write2_b32 v80, v2, v4 offset1:9
	ds_write_b32 v80, v0 offset:72
	s_waitcnt lgkmcnt(0)
	s_barrier
	buffer_gl0_inv
	ds_read_b32 v57, v30 offset:6552
	ds_read2_b32 v[8:9], v30 offset1:63
	ds_read2_b32 v[0:1], v79 offset0:120 offset1:183
	ds_read2_b32 v[10:11], v52 offset0:110 offset1:173
	;; [unrolled: 1-line block ×12, first 2 shown]
	s_waitcnt lgkmcnt(0)
	s_barrier
	buffer_gl0_inv
	ds_write2_b32 v103, v33, v111 offset1:9
	ds_write_b32 v103, v66 offset:72
	v_add_f32_e32 v33, v93, v91
	v_add_f32_e32 v66, v92, v89
	v_fmamk_f32 v91, v101, 0xbf5db3d7, v67
	v_fmac_f32_e32 v67, 0x3f5db3d7, v101
	v_add_f32_e32 v92, v68, v92
	v_sub_f32_e32 v93, v100, v99
	v_fma_f32 v66, -0.5, v66, v68
	ds_write2_b32 v104, v33, v91 offset1:9
	v_add_f32_e32 v33, v77, v88
	ds_write_b32 v104, v67 offset:72
	v_add_f32_e32 v67, v92, v89
	v_fmamk_f32 v68, v93, 0xbf5db3d7, v66
	v_add_f32_e32 v77, v69, v77
	v_fmac_f32_e32 v69, -0.5, v33
	v_sub_f32_e32 v33, v98, v97
	v_fmac_f32_e32 v66, 0x3f5db3d7, v93
	ds_write2_b32 v105, v67, v68 offset1:9
	v_add_f32_e32 v67, v77, v88
	v_add_f32_e32 v68, v76, v74
	v_fmamk_f32 v77, v33, 0xbf5db3d7, v69
	ds_write_b32 v105, v66 offset:72
	v_add_f32_e32 v66, v70, v76
	v_sub_f32_e32 v76, v94, v90
	v_fma_f32 v68, -0.5, v68, v70
	ds_write2_b32 v106, v67, v77 offset1:9
	v_add_f32_e32 v67, v73, v72
	v_fmac_f32_e32 v69, 0x3f5db3d7, v33
	v_add_f32_e32 v70, v71, v73
	v_add_f32_e32 v33, v66, v74
	v_fmamk_f32 v66, v76, 0xbf5db3d7, v68
	v_fmac_f32_e32 v71, -0.5, v67
	v_sub_f32_e32 v67, v75, v87
	ds_write_b32 v106, v69 offset:72
	ds_write2_b32 v107, v33, v66 offset1:9
	v_fmac_f32_e32 v68, 0x3f5db3d7, v76
	v_add_f32_e32 v33, v70, v72
	v_fmamk_f32 v66, v67, 0xbf5db3d7, v71
	v_fmac_f32_e32 v71, 0x3f5db3d7, v67
	v_mov_b32_e32 v67, 0x2f69
	ds_write_b32 v107, v68 offset:72
	ds_write2_b32 v108, v33, v66 offset1:9
	ds_write_b32 v108, v71 offset:72
	v_add_f32_e32 v68, v28, v64
	v_mul_u32_u24_sdwa v33, v31, v67 dst_sel:DWORD dst_unused:UNUSED_PAD src0_sel:WORD_0 src1_sel:DWORD
	v_add_f32_e32 v64, v64, v62
	v_add_f32_e32 v66, v58, v43
	v_sub_f32_e32 v22, v65, v22
	v_add_f32_e32 v58, v29, v58
	v_lshrrev_b32_e32 v33, 16, v33
	v_fma_f32 v28, -0.5, v64, v28
	v_sub_f32_e32 v59, v59, v61
	v_fmac_f32_e32 v29, -0.5, v66
	v_add_f32_e32 v62, v68, v62
	v_sub_nc_u16 v61, v31, v33
	v_fmamk_f32 v64, v22, 0xbf5db3d7, v28
	v_fmac_f32_e32 v28, 0x3f5db3d7, v22
	v_add_f32_e32 v22, v58, v43
	v_fmamk_f32 v43, v59, 0xbf5db3d7, v29
	v_lshrrev_b16 v58, 1, v61
	ds_write2_b32 v78, v62, v64 offset1:9
	v_add_f32_e32 v61, v35, v32
	ds_write_b32 v78, v28 offset:72
	ds_write2_b32 v63, v22, v43 offset1:9
	v_add_f32_e32 v28, v23, v35
	v_add_nc_u16 v22, v58, v33
	v_sub_f32_e32 v34, v42, v34
	v_fmac_f32_e32 v23, -0.5, v61
	v_fmac_f32_e32 v29, 0x3f5db3d7, v59
	v_add_f32_e32 v28, v28, v32
	v_lshrrev_b16 v33, 4, v22
	v_mul_u32_u24_sdwa v22, v46, v67 dst_sel:DWORD dst_unused:UNUSED_PAD src0_sel:WORD_0 src1_sel:DWORD
	v_fmamk_f32 v32, v34, 0xbf5db3d7, v23
	ds_write_b32 v63, v29 offset:72
	v_mul_u32_u24_sdwa v35, v51, v67 dst_sel:DWORD dst_unused:UNUSED_PAD src0_sel:WORD_0 src1_sel:DWORD
	v_mul_lo_u16 v29, v33, 27
	v_lshrrev_b32_e32 v22, 16, v22
	ds_write2_b32 v80, v28, v32 offset1:9
	v_fmac_f32_e32 v23, 0x3f5db3d7, v34
	v_mul_u32_u24_sdwa v32, v48, v67 dst_sel:DWORD dst_unused:UNUSED_PAD src0_sel:WORD_0 src1_sel:DWORD
	v_sub_nc_u16 v34, v31, v29
	v_sub_nc_u16 v28, v46, v22
	v_lshrrev_b32_e32 v29, 16, v35
	v_mul_u32_u24_sdwa v42, v49, v67 dst_sel:DWORD dst_unused:UNUSED_PAD src0_sel:WORD_0 src1_sel:DWORD
	v_lshrrev_b32_e32 v32, 16, v32
	ds_write_b32 v80, v23 offset:72
	v_lshrrev_b16 v28, 1, v28
	v_sub_nc_u16 v35, v51, v29
	v_lshrrev_b32_e32 v42, 16, v42
	v_lshlrev_b32_sdwa v23, v45, v34 dst_sel:DWORD dst_unused:UNUSED_PAD src0_sel:DWORD src1_sel:WORD_0
	s_waitcnt lgkmcnt(0)
	v_add_nc_u16 v22, v28, v22
	v_lshrrev_b16 v28, 1, v35
	v_sub_nc_u16 v35, v48, v32
	s_barrier
	buffer_gl0_inv
	v_lshrrev_b16 v80, 4, v22
	v_add_nc_u16 v22, v28, v29
	v_lshrrev_b16 v28, 1, v35
	v_sub_nc_u16 v29, v49, v42
	global_load_dwordx4 v[61:64], v23, s[8:9] offset:192
	v_mul_lo_u16 v35, v80, 27
	v_lshrrev_b16 v115, 4, v22
	v_add_nc_u16 v22, v28, v32
	v_lshrrev_b16 v28, 1, v29
	v_sub_nc_u16 v116, v46, v35
	v_mul_lo_u16 v23, v115, 27
	v_lshrrev_b16 v117, 4, v22
	v_add_nc_u16 v22, v28, v42
	v_lshlrev_b32_sdwa v28, v45, v116 dst_sel:DWORD dst_unused:UNUSED_PAD src0_sel:DWORD src1_sel:WORD_0
	v_sub_nc_u16 v118, v51, v23
	v_mul_lo_u16 v23, v117, 27
	v_lshrrev_b16 v119, 4, v22
	global_load_dwordx4 v[65:68], v28, s[8:9] offset:192
	v_lshlrev_b32_sdwa v22, v45, v118 dst_sel:DWORD dst_unused:UNUSED_PAD src0_sel:DWORD src1_sel:WORD_0
	v_sub_nc_u16 v120, v48, v23
	v_mul_lo_u16 v23, v119, 27
	global_load_dwordx4 v[69:72], v22, s[8:9] offset:192
	v_lshlrev_b32_sdwa v22, v45, v120 dst_sel:DWORD dst_unused:UNUSED_PAD src0_sel:DWORD src1_sel:WORD_0
	v_sub_nc_u16 v121, v49, v23
	v_mul_lo_u16 v23, v56, 19
	v_mul_lo_u16 v28, v41, 19
	global_load_dwordx4 v[73:76], v22, s[8:9] offset:192
	v_lshlrev_b32_sdwa v22, v45, v121 dst_sel:DWORD dst_unused:UNUSED_PAD src0_sel:DWORD src1_sel:WORD_0
	v_lshrrev_b16 v122, 9, v23
	v_mul_lo_u16 v23, v54, 19
	v_lshrrev_b16 v127, 9, v28
	global_load_dwordx4 v[87:90], v22, s[8:9] offset:192
	v_mul_lo_u16 v22, v122, 27
	v_lshrrev_b16 v123, 9, v23
	v_mul_lo_u16 v23, v40, 19
	v_sub_nc_u16 v124, v96, v22
	v_mul_lo_u16 v22, v123, 27
	v_lshrrev_b16 v125, 9, v23
	v_lshlrev_b32_sdwa v23, v45, v124 dst_sel:DWORD dst_unused:UNUSED_PAD src0_sel:DWORD src1_sel:BYTE_0
	v_sub_nc_u16 v126, v55, v22
	v_mul_lo_u16 v22, v125, 27
	global_load_dwordx4 v[40:43], v23, s[8:9] offset:192
	v_sub_nc_u16 v128, v53, v22
	v_mul_lo_u16 v22, v127, 27
	v_sub_nc_u16 v129, v95, v22
	v_lshlrev_b32_sdwa v22, v45, v129 dst_sel:DWORD dst_unused:UNUSED_PAD src0_sel:DWORD src1_sel:BYTE_0
	global_load_dwordx4 v[101:104], v22, s[8:9] offset:192
	v_lshlrev_b32_sdwa v23, v45, v126 dst_sel:DWORD dst_unused:UNUSED_PAD src0_sel:DWORD src1_sel:BYTE_0
	global_load_dwordx4 v[91:94], v23, s[8:9] offset:192
	;; [unrolled: 2-line block ×3, first 2 shown]
	ds_read_b32 v29, v30 offset:6552
	ds_read2_b32 v[58:59], v82 offset0:112 offset1:175
	ds_read2_b32 v[77:78], v60 offset0:104 offset1:167
	;; [unrolled: 1-line block ×7, first 2 shown]
	s_waitcnt vmcnt(8) lgkmcnt(6)
	v_mul_f32_e32 v32, v59, v62
	v_mul_f32_e32 v28, v27, v62
	;; [unrolled: 1-line block ×4, first 2 shown]
	v_fma_f32 v27, v27, v61, -v32
	v_fmac_f32_e32 v28, v59, v61
	v_fma_f32 v23, v57, v63, -v23
	v_fmac_f32_e32 v22, v29, v63
	s_waitcnt vmcnt(7)
	v_mul_f32_e32 v35, v58, v66
	v_mul_f32_e32 v32, v26, v66
	s_waitcnt lgkmcnt(5)
	v_mul_f32_e32 v59, v78, v68
	v_mul_f32_e32 v29, v25, v68
	v_fma_f32 v26, v26, v65, -v35
	s_waitcnt vmcnt(6)
	v_mul_f32_e32 v61, v77, v72
	s_waitcnt lgkmcnt(4)
	v_mul_f32_e32 v62, v106, v70
	v_fmac_f32_e32 v32, v58, v65
	v_mul_f32_e32 v57, v21, v70
	v_fma_f32 v25, v25, v67, -v59
	v_mul_f32_e32 v35, v24, v72
	s_waitcnt vmcnt(5)
	v_mul_f32_e32 v58, v105, v74
	s_waitcnt lgkmcnt(3)
	v_mul_f32_e32 v59, v108, v76
	v_fmac_f32_e32 v29, v78, v67
	v_mul_f32_e32 v63, v20, v74
	v_mul_f32_e32 v64, v13, v76
	v_fma_f32 v24, v24, v71, -v61
	s_waitcnt vmcnt(4)
	v_mul_f32_e32 v65, v107, v90
	s_waitcnt lgkmcnt(2)
	v_mul_f32_e32 v66, v110, v88
	v_mul_f32_e32 v61, v12, v90
	;; [unrolled: 1-line block ×3, first 2 shown]
	v_fma_f32 v62, v21, v69, -v62
	v_fmac_f32_e32 v57, v106, v69
	v_fma_f32 v68, v20, v73, -v58
	v_fma_f32 v69, v13, v75, -v59
	;; [unrolled: 1-line block ×4, first 2 shown]
	ds_read2_b32 v[19:20], v52 offset0:110 offset1:173
	ds_read2_b32 v[12:13], v79 offset0:120 offset1:183
	v_fmac_f32_e32 v35, v77, v71
	v_fmac_f32_e32 v63, v105, v73
	;; [unrolled: 1-line block ×4, first 2 shown]
	s_waitcnt vmcnt(3)
	v_mul_f32_e32 v21, v109, v41
	v_mul_f32_e32 v70, v18, v41
	s_waitcnt lgkmcnt(3)
	v_mul_f32_e32 v41, v112, v43
	v_mul_f32_e32 v71, v17, v43
	v_lshlrev_b32_sdwa v87, v47, v128 dst_sel:DWORD dst_unused:UNUSED_PAD src0_sel:DWORD src1_sel:BYTE_0
	v_fma_f32 v72, v18, v40, -v21
	v_fmac_f32_e32 v70, v109, v40
	v_fma_f32 v73, v17, v42, -v41
	v_fmac_f32_e32 v71, v112, v42
	v_fmac_f32_e32 v61, v107, v89
	s_waitcnt vmcnt(1)
	v_mul_f32_e32 v18, v111, v94
	v_mul_f32_e32 v74, v16, v94
	s_waitcnt lgkmcnt(2)
	v_mul_f32_e32 v17, v114, v92
	v_mul_f32_e32 v76, v15, v92
	v_fma_f32 v75, v16, v93, -v18
	s_waitcnt vmcnt(0)
	v_mul_f32_e32 v16, v113, v98
	v_fma_f32 v77, v15, v91, -v17
	v_mul_f32_e32 v78, v14, v98
	v_fmac_f32_e32 v76, v114, v91
	s_waitcnt lgkmcnt(1)
	v_mul_f32_e32 v15, v19, v104
	v_fma_f32 v91, v14, v97, -v16
	v_mul_f32_e32 v14, v20, v100
	s_waitcnt lgkmcnt(0)
	v_mul_f32_e32 v16, v13, v102
	v_fmac_f32_e32 v74, v111, v93
	v_mul_f32_e32 v92, v11, v100
	v_fmac_f32_e32 v78, v113, v97
	v_fma_f32 v93, v11, v99, -v14
	v_fma_f32 v14, v10, v103, -v15
	;; [unrolled: 1-line block ×3, first 2 shown]
	v_mul_f32_e32 v10, v10, v104
	v_mul_f32_e32 v1, v1, v102
	v_fmac_f32_e32 v92, v20, v99
	v_mov_b32_e32 v11, 0x144
	v_add_f32_e32 v20, v15, v14
	v_fmac_f32_e32 v10, v19, v103
	v_fmac_f32_e32 v1, v13, v101
	v_lshlrev_b32_sdwa v17, v47, v129 dst_sel:DWORD dst_unused:UNUSED_PAD src0_sel:DWORD src1_sel:BYTE_0
	v_mul_u32_u24_sdwa v16, v127, v11 dst_sel:DWORD dst_unused:UNUSED_PAD src0_sel:WORD_0 src1_sel:DWORD
	v_add_f32_e32 v18, v8, v15
	v_fma_f32 v8, -0.5, v20, v8
	v_sub_f32_e32 v40, v1, v10
	v_add_f32_e32 v42, v91, v93
	v_add3_u32 v94, 0, v16, v17
	v_add_f32_e32 v13, v18, v14
	v_mul_u32_u24_sdwa v43, v125, v11 dst_sel:DWORD dst_unused:UNUSED_PAD src0_sel:WORD_0 src1_sel:DWORD
	v_fmamk_f32 v41, v40, 0x3f5db3d7, v8
	v_fmac_f32_e32 v8, 0xbf5db3d7, v40
	v_add_f32_e32 v40, v9, v91
	v_fmac_f32_e32 v9, -0.5, v42
	v_sub_f32_e32 v42, v78, v92
	ds_read2_b32 v[16:17], v30 offset1:63
	ds_read2_b32 v[18:19], v30 offset0:126 offset1:189
	ds_read2_b32 v[20:21], v50 offset0:124 offset1:187
	;; [unrolled: 1-line block ×3, first 2 shown]
	s_waitcnt lgkmcnt(0)
	s_barrier
	buffer_gl0_inv
	ds_write2_b32 v94, v13, v41 offset1:27
	ds_write_b32 v94, v8 offset:216
	v_add3_u32 v97, 0, v43, v87
	v_add_f32_e32 v8, v40, v93
	v_fmamk_f32 v13, v42, 0x3f5db3d7, v9
	v_add_f32_e32 v40, v77, v75
	v_fmac_f32_e32 v9, 0xbf5db3d7, v42
	v_mul_u32_u24_sdwa v41, v123, v11 dst_sel:DWORD dst_unused:UNUSED_PAD src0_sel:WORD_0 src1_sel:DWORD
	v_lshlrev_b32_sdwa v42, v47, v126 dst_sel:DWORD dst_unused:UNUSED_PAD src0_sel:DWORD src1_sel:BYTE_0
	v_add_f32_e32 v43, v6, v77
	v_fma_f32 v6, -0.5, v40, v6
	v_sub_f32_e32 v40, v76, v74
	ds_write2_b32 v97, v8, v13 offset1:27
	ds_write_b32 v97, v9 offset:216
	v_add_f32_e32 v13, v72, v73
	v_add3_u32 v98, 0, v41, v42
	v_add_f32_e32 v8, v43, v75
	v_fmamk_f32 v9, v40, 0x3f5db3d7, v6
	v_fmac_f32_e32 v6, 0xbf5db3d7, v40
	v_add_f32_e32 v40, v7, v72
	v_mul_u32_u24_sdwa v41, v122, v11 dst_sel:DWORD dst_unused:UNUSED_PAD src0_sel:WORD_0 src1_sel:DWORD
	v_lshlrev_b32_sdwa v42, v47, v124 dst_sel:DWORD dst_unused:UNUSED_PAD src0_sel:DWORD src1_sel:BYTE_0
	v_fmac_f32_e32 v7, -0.5, v13
	v_sub_f32_e32 v13, v70, v71
	ds_write2_b32 v98, v8, v9 offset1:27
	ds_write_b32 v98, v6 offset:216
	v_add_f32_e32 v6, v40, v73
	v_add3_u32 v99, 0, v41, v42
	v_mul_u32_u24_sdwa v9, v119, v11 dst_sel:DWORD dst_unused:UNUSED_PAD src0_sel:WORD_0 src1_sel:DWORD
	v_fmamk_f32 v8, v13, 0x3f5db3d7, v7
	v_fmac_f32_e32 v7, 0xbf5db3d7, v13
	v_lshlrev_b32_sdwa v13, v47, v121 dst_sel:DWORD dst_unused:UNUSED_PAD src0_sel:DWORD src1_sel:WORD_0
	v_add_f32_e32 v40, v4, v66
	v_add_f32_e32 v41, v66, v65
	ds_write2_b32 v99, v6, v8 offset1:27
	ds_write_b32 v99, v7 offset:216
	v_add_f32_e32 v8, v68, v69
	v_add3_u32 v100, 0, v9, v13
	v_mul_u32_u24_sdwa v9, v117, v11 dst_sel:DWORD dst_unused:UNUSED_PAD src0_sel:WORD_0 src1_sel:DWORD
	v_lshlrev_b32_sdwa v13, v47, v120 dst_sel:DWORD dst_unused:UNUSED_PAD src0_sel:DWORD src1_sel:WORD_0
	v_add_f32_e32 v6, v40, v65
	v_fma_f32 v4, -0.5, v41, v4
	v_sub_f32_e32 v7, v67, v61
	v_add_f32_e32 v40, v5, v68
	v_fmac_f32_e32 v5, -0.5, v8
	v_add_f32_e32 v8, v62, v24
	v_add3_u32 v103, 0, v9, v13
	v_sub_f32_e32 v9, v63, v64
	v_fmamk_f32 v41, v7, 0x3f5db3d7, v4
	v_fmac_f32_e32 v4, 0xbf5db3d7, v7
	v_add_f32_e32 v7, v40, v69
	v_mul_u32_u24_sdwa v13, v115, v11 dst_sel:DWORD dst_unused:UNUSED_PAD src0_sel:WORD_0 src1_sel:DWORD
	v_lshlrev_b32_sdwa v40, v47, v118 dst_sel:DWORD dst_unused:UNUSED_PAD src0_sel:DWORD src1_sel:WORD_0
	v_add_f32_e32 v42, v2, v62
	v_fma_f32 v2, -0.5, v8, v2
	v_sub_f32_e32 v8, v57, v35
	v_fmamk_f32 v43, v9, 0x3f5db3d7, v5
	v_fmac_f32_e32 v5, 0xbf5db3d7, v9
	v_add3_u32 v104, 0, v13, v40
	v_add_f32_e32 v9, v42, v24
	v_fmamk_f32 v13, v8, 0x3f5db3d7, v2
	ds_write2_b32 v100, v6, v41 offset1:27
	ds_write_b32 v100, v4 offset:216
	ds_write2_b32 v103, v7, v43 offset1:27
	ds_write_b32 v103, v5 offset:216
	ds_write2_b32 v104, v9, v13 offset1:27
	v_mul_u32_u24_sdwa v5, v80, v11 dst_sel:DWORD dst_unused:UNUSED_PAD src0_sel:WORD_0 src1_sel:DWORD
	v_lshlrev_b32_sdwa v6, v47, v116 dst_sel:DWORD dst_unused:UNUSED_PAD src0_sel:DWORD src1_sel:WORD_0
	v_add_f32_e32 v4, v26, v25
	v_fmac_f32_e32 v2, 0xbf5db3d7, v8
	v_add_f32_e32 v7, v3, v26
	v_mul_u32_u24_sdwa v8, v33, v11 dst_sel:DWORD dst_unused:UNUSED_PAD src0_sel:WORD_0 src1_sel:DWORD
	v_add3_u32 v80, 0, v5, v6
	v_add_f32_e32 v5, v27, v23
	v_fmac_f32_e32 v3, -0.5, v4
	v_sub_f32_e32 v4, v32, v29
	ds_write_b32 v104, v2 offset:216
	v_add_f32_e32 v2, v7, v25
	v_add_f32_e32 v7, v0, v27
	v_fmac_f32_e32 v0, -0.5, v5
	v_sub_f32_e32 v5, v28, v22
	v_fmamk_f32 v6, v4, 0x3f5db3d7, v3
	v_fmac_f32_e32 v3, 0xbf5db3d7, v4
	v_lshlrev_b32_sdwa v9, v47, v34 dst_sel:DWORD dst_unused:UNUSED_PAD src0_sel:DWORD src1_sel:WORD_0
	v_sub_f32_e32 v105, v15, v14
	v_fmamk_f32 v4, v5, 0x3f5db3d7, v0
	v_fmac_f32_e32 v0, 0xbf5db3d7, v5
	v_add_f32_e32 v5, v16, v1
	v_add_f32_e32 v1, v1, v10
	;; [unrolled: 1-line block ×3, first 2 shown]
	ds_write2_b32 v80, v2, v6 offset1:27
	v_add3_u32 v33, 0, v8, v9
	v_add_f32_e32 v2, v7, v23
	v_fma_f32 v106, -0.5, v1, v16
	v_add_f32_e32 v34, v5, v10
	v_add_f32_e32 v78, v17, v78
	v_fmac_f32_e32 v17, -0.5, v108
	v_sub_f32_e32 v91, v91, v93
	v_fmamk_f32 v109, v105, 0xbf5db3d7, v106
	v_fmac_f32_e32 v106, 0x3f5db3d7, v105
	ds_write_b32 v80, v3 offset:216
	ds_write2_b32 v33, v2, v4 offset1:27
	ds_write_b32 v33, v0 offset:216
	s_waitcnt lgkmcnt(0)
	s_barrier
	buffer_gl0_inv
	ds_read_b32 v107, v30 offset:6552
	ds_read2_b32 v[4:5], v30 offset1:63
	ds_read2_b32 v[40:41], v79 offset0:120 offset1:183
	ds_read2_b32 v[6:7], v52 offset0:110 offset1:173
	;; [unrolled: 1-line block ×12, first 2 shown]
	s_waitcnt lgkmcnt(0)
	s_barrier
	buffer_gl0_inv
	ds_write2_b32 v94, v34, v109 offset1:27
	ds_write_b32 v94, v106 offset:216
	v_add_f32_e32 v34, v78, v92
	v_add_f32_e32 v92, v76, v74
	v_fmamk_f32 v78, v91, 0xbf5db3d7, v17
	v_fmac_f32_e32 v17, 0x3f5db3d7, v91
	v_add_f32_e32 v91, v70, v71
	v_add_f32_e32 v76, v18, v76
	v_sub_f32_e32 v75, v77, v75
	v_fma_f32 v18, -0.5, v92, v18
	v_add_f32_e32 v70, v19, v70
	v_fmac_f32_e32 v19, -0.5, v91
	v_sub_f32_e32 v72, v72, v73
	v_add_f32_e32 v73, v76, v74
	v_fmamk_f32 v74, v75, 0xbf5db3d7, v18
	v_fmac_f32_e32 v18, 0x3f5db3d7, v75
	v_add_f32_e32 v70, v70, v71
	v_fmamk_f32 v71, v72, 0xbf5db3d7, v19
	ds_write2_b32 v97, v34, v78 offset1:27
	ds_write_b32 v97, v17 offset:216
	ds_write2_b32 v98, v73, v74 offset1:27
	ds_write_b32 v98, v18 offset:216
	ds_write2_b32 v99, v70, v71 offset1:27
	v_add_f32_e32 v17, v67, v61
	v_add_f32_e32 v18, v20, v67
	;; [unrolled: 1-line block ×3, first 2 shown]
	v_sub_f32_e32 v65, v66, v65
	v_fmac_f32_e32 v19, 0x3f5db3d7, v72
	v_fma_f32 v17, -0.5, v17, v20
	v_add_f32_e32 v18, v18, v61
	v_add_f32_e32 v20, v21, v63
	v_fmac_f32_e32 v21, -0.5, v34
	v_sub_f32_e32 v34, v68, v69
	v_fmamk_f32 v61, v65, 0xbf5db3d7, v17
	v_fmac_f32_e32 v17, 0x3f5db3d7, v65
	ds_write_b32 v99, v19 offset:216
	v_add_f32_e32 v19, v20, v64
	v_fmamk_f32 v20, v34, 0xbf5db3d7, v21
	ds_write2_b32 v100, v18, v61 offset1:27
	ds_write_b32 v100, v17 offset:216
	v_add_f32_e32 v17, v57, v35
	v_fmac_f32_e32 v21, 0x3f5db3d7, v34
	v_add_f32_e32 v18, v58, v57
	ds_write2_b32 v103, v19, v20 offset1:27
	v_sub_f32_e32 v19, v62, v24
	v_fma_f32 v17, -0.5, v17, v58
	ds_write_b32 v103, v21 offset:216
	v_add_f32_e32 v20, v32, v29
	v_mov_b32_e32 v21, 0x6523
	v_add_f32_e32 v18, v18, v35
	v_fmamk_f32 v24, v19, 0xbf5db3d7, v17
	v_add_f32_e32 v32, v59, v32
	v_fmac_f32_e32 v59, -0.5, v20
	v_sub_f32_e32 v20, v26, v25
	v_mul_u32_u24_sdwa v25, v31, v21 dst_sel:DWORD dst_unused:UNUSED_PAD src0_sel:WORD_0 src1_sel:DWORD
	ds_write2_b32 v104, v18, v24 offset1:27
	v_fmac_f32_e32 v17, 0x3f5db3d7, v19
	v_add_f32_e32 v18, v32, v29
	v_fmamk_f32 v19, v20, 0xbf5db3d7, v59
	v_lshrrev_b32_e32 v24, 21, v25
	v_fmac_f32_e32 v59, 0x3f5db3d7, v20
	ds_write_b32 v104, v17 offset:216
	v_add_f32_e32 v17, v28, v22
	ds_write2_b32 v80, v18, v19 offset1:27
	v_mul_lo_u16 v18, 0x51, v24
	v_add_f32_e32 v19, v12, v28
	v_mul_u32_u24_sdwa v20, v46, v21 dst_sel:DWORD dst_unused:UNUSED_PAD src0_sel:WORD_0 src1_sel:DWORD
	v_fmac_f32_e32 v12, -0.5, v17
	v_sub_f32_e32 v17, v27, v23
	v_sub_nc_u16 v18, v31, v18
	v_add_f32_e32 v19, v19, v22
	v_mul_u32_u24_sdwa v22, v51, v21 dst_sel:DWORD dst_unused:UNUSED_PAD src0_sel:WORD_0 src1_sel:DWORD
	v_lshrrev_b32_e32 v105, 21, v20
	v_fmamk_f32 v23, v17, 0xbf5db3d7, v12
	v_and_b32_e32 v69, 0xffff, v18
	v_fmac_f32_e32 v12, 0x3f5db3d7, v17
	v_lshrrev_b32_e32 v106, 21, v22
	v_mul_lo_u16 v18, 0x51, v105
	ds_write_b32 v80, v59 offset:216
	ds_write2_b32 v33, v19, v23 offset1:27
	ds_write_b32 v33, v12 offset:216
	v_mul_lo_u16 v12, 0x51, v106
	v_sub_nc_u16 v108, v46, v18
	v_lshlrev_b32_e32 v17, 4, v69
	v_mul_u32_u24_sdwa v18, v49, v21 dst_sel:DWORD dst_unused:UNUSED_PAD src0_sel:WORD_0 src1_sel:DWORD
	s_waitcnt lgkmcnt(0)
	v_sub_nc_u16 v109, v51, v12
	v_mul_u32_u24_sdwa v12, v48, v21 dst_sel:DWORD dst_unused:UNUSED_PAD src0_sel:WORD_0 src1_sel:DWORD
	v_lshlrev_b32_sdwa v19, v45, v108 dst_sel:DWORD dst_unused:UNUSED_PAD src0_sel:DWORD src1_sel:WORD_0
	s_barrier
	buffer_gl0_inv
	global_load_dwordx4 v[23:26], v17, s[8:9] offset:624
	v_lshrrev_b32_e32 v110, 21, v12
	global_load_dwordx4 v[31:34], v19, s[8:9] offset:624
	v_lshlrev_b32_sdwa v17, v45, v109 dst_sel:DWORD dst_unused:UNUSED_PAD src0_sel:DWORD src1_sel:WORD_0
	v_lshrrev_b32_e32 v12, 21, v18
	v_subrev_nc_u32_e32 v19, 18, v95
	v_mul_lo_u16 v18, 0x51, v110
	global_load_dwordx4 v[61:64], v17, s[8:9] offset:624
	v_mul_lo_u16 v12, 0x51, v12
	v_mul_lo_u16 v17, 0xcb, v56
	v_sub_nc_u16 v111, v48, v18
	v_mul_lo_u16 v18, 0xcb, v54
	v_cndmask_b32_e64 v116, v19, v53, s0
	v_sub_nc_u16 v12, v49, v12
	v_lshrrev_b16 v112, 14, v17
	v_lshlrev_b32_sdwa v17, v45, v111 dst_sel:DWORD dst_unused:UNUSED_PAD src0_sel:DWORD src1_sel:WORD_0
	v_lshrrev_b16 v115, 14, v18
	v_mov_b32_e32 v18, 0
	v_and_b32_e32 v113, 0xffff, v12
	v_mul_lo_u16 v12, 0x51, v112
	global_load_dwordx4 v[56:59], v17, s[8:9] offset:624
	v_mul_lo_u16 v20, 0x51, v115
	v_sub_nc_u16 v114, v96, v12
	v_sub_nc_u16 v117, v55, v20
	v_lshlrev_b32_sdwa v12, v45, v114 dst_sel:DWORD dst_unused:UNUSED_PAD src0_sel:DWORD src1_sel:BYTE_0
	global_load_dwordx4 v[70:73], v12, s[8:9] offset:624
	v_lshlrev_b32_e32 v17, 4, v113
	v_lshlrev_b32_sdwa v12, v45, v117 dst_sel:DWORD dst_unused:UNUSED_PAD src0_sel:DWORD src1_sel:BYTE_0
	s_clause 0x1
	global_load_dwordx4 v[65:68], v17, s[8:9] offset:624
	global_load_dwordx4 v[74:77], v12, s[8:9] offset:624
	v_lshlrev_b32_e32 v17, 1, v95
	v_lshlrev_b64 v[19:20], 3, v[17:18]
	v_lshlrev_b32_e32 v17, 1, v116
	v_lshlrev_b64 v[17:18], 3, v[17:18]
	v_add_co_u32 v17, s0, s8, v17
	v_add_co_ci_u32_e64 v18, s0, s9, v18, s0
	v_add_co_u32 v19, s0, s8, v19
	v_add_co_ci_u32_e64 v20, s0, s9, v20, s0
	s_clause 0x1
	global_load_dwordx4 v[91:94], v[17:18], off offset:624
	global_load_dwordx4 v[97:100], v[19:20], off offset:624
	ds_read_b32 v21, v30 offset:6552
	ds_read2_b32 v[27:28], v82 offset0:112 offset1:175
	ds_read2_b32 v[45:46], v60 offset0:104 offset1:167
	;; [unrolled: 1-line block ×5, first 2 shown]
	v_cmp_lt_u32_e64 s0, 17, v95
	s_waitcnt vmcnt(8) lgkmcnt(5)
	v_mul_f32_e32 v19, v21, v26
	v_mul_f32_e32 v12, v107, v26
	s_waitcnt lgkmcnt(4)
	v_mul_f32_e32 v22, v28, v24
	v_mul_f32_e32 v18, v102, v24
	s_waitcnt vmcnt(7)
	v_mul_f32_e32 v26, v27, v32
	v_mul_f32_e32 v20, v101, v32
	s_waitcnt lgkmcnt(3)
	v_mul_f32_e32 v29, v46, v34
	v_fma_f32 v19, v107, v25, -v19
	s_waitcnt vmcnt(6)
	v_mul_f32_e32 v32, v45, v64
	v_mul_f32_e32 v24, v89, v64
	v_fmac_f32_e32 v12, v21, v25
	v_fma_f32 v21, v102, v23, -v22
	v_fma_f32 v22, v101, v31, -v26
	v_fmac_f32_e32 v20, v27, v31
	v_fma_f32 v25, v89, v63, -v32
	v_fmac_f32_e32 v24, v45, v63
	s_waitcnt lgkmcnt(2)
	v_mul_f32_e32 v27, v49, v62
	v_mul_f32_e32 v26, v88, v62
	ds_read2_b32 v[62:63], v83 offset0:108 offset1:171
	v_mul_f32_e32 v17, v90, v34
	v_fmac_f32_e32 v18, v28, v23
	s_waitcnt vmcnt(5)
	v_mul_f32_e32 v31, v87, v57
	v_fma_f32 v23, v90, v33, -v29
	v_mul_f32_e32 v28, v48, v57
	v_fmac_f32_e32 v26, v49, v61
	v_mul_f32_e32 v29, v16, v59
	v_fmac_f32_e32 v31, v48, v56
	ds_read2_b32 v[48:49], v81 offset0:118 offset1:181
	v_fmac_f32_e32 v17, v46, v33
	s_waitcnt lgkmcnt(3)
	v_mul_f32_e32 v33, v54, v59
	v_fmac_f32_e32 v29, v54, v58
	v_fma_f32 v28, v87, v56, -v28
	v_fma_f32 v27, v88, v61, -v27
	v_lshlrev_b32_sdwa v59, v47, v117 dst_sel:DWORD dst_unused:UNUSED_PAD src0_sel:DWORD src1_sel:BYTE_0
	v_fma_f32 v16, v16, v58, -v33
	s_waitcnt vmcnt(4) lgkmcnt(2)
	v_mul_f32_e32 v46, v103, v71
	s_waitcnt lgkmcnt(1)
	v_mul_f32_e32 v51, v63, v73
	s_waitcnt vmcnt(3)
	v_mul_f32_e32 v32, v15, v68
	v_mul_f32_e32 v34, v53, v68
	;; [unrolled: 1-line block ×4, first 2 shown]
	s_waitcnt vmcnt(2)
	v_mul_f32_e32 v56, v10, v77
	v_fmac_f32_e32 v32, v53, v67
	ds_read2_b32 v[53:54], v52 offset0:110 offset1:173
	ds_read2_b32 v[44:45], v79 offset0:120 offset1:183
	v_fma_f32 v15, v15, v67, -v34
	v_mul_f32_e32 v34, v13, v71
	v_fma_f32 v14, v14, v65, -v35
	v_fma_f32 v13, v13, v70, -v46
	;; [unrolled: 1-line block ×3, first 2 shown]
	v_mul_f32_e32 v51, v11, v73
	v_mul_f32_e32 v11, v62, v77
	s_waitcnt lgkmcnt(2)
	v_mul_f32_e32 v46, v49, v75
	v_mul_f32_e32 v71, v9, v75
	v_fmac_f32_e32 v56, v62, v76
	v_fmac_f32_e32 v51, v63, v72
	v_fma_f32 v72, v10, v76, -v11
	v_fma_f32 v77, v9, v74, -v46
	v_fmac_f32_e32 v71, v49, v74
	v_fmac_f32_e32 v34, v103, v70
	;; [unrolled: 1-line block ×3, first 2 shown]
	v_add_f32_e32 v60, v2, v77
	v_sub_f32_e32 v61, v71, v56
	s_waitcnt vmcnt(1)
	v_mul_f32_e32 v9, v48, v92
	v_mul_f32_e32 v89, v8, v92
	s_waitcnt vmcnt(0) lgkmcnt(0)
	v_mul_f32_e32 v11, v45, v98
	v_mul_f32_e32 v46, v53, v100
	;; [unrolled: 1-line block ×3, first 2 shown]
	v_fma_f32 v78, v8, v91, -v9
	v_fmac_f32_e32 v89, v48, v91
	v_fma_f32 v90, v41, v97, -v11
	v_fma_f32 v91, v6, v99, -v46
	v_mul_f32_e32 v88, v6, v100
	v_mul_f32_e32 v92, v41, v98
	v_fma_f32 v80, v7, v93, -v10
	v_mul_f32_e32 v87, v7, v94
	v_add_f32_e32 v6, v4, v90
	v_add_f32_e32 v7, v90, v91
	v_fmac_f32_e32 v88, v53, v99
	v_fmac_f32_e32 v92, v45, v97
	v_fmac_f32_e32 v87, v54, v93
	v_add_f32_e32 v41, v6, v91
	v_fma_f32 v48, -0.5, v7, v4
	ds_read2_b32 v[6:7], v50 offset0:124 offset1:187
	ds_read2_b32 v[10:11], v30 offset1:63
	ds_read2_b32 v[8:9], v30 offset0:126 offset1:189
	v_sub_f32_e32 v4, v92, v88
	v_add_f32_e32 v50, v78, v80
	v_lshlrev_b32_e32 v53, 2, v116
	v_cndmask_b32_e64 v54, 0, 0x3cc, s0
	v_add_f32_e32 v57, v5, v78
	v_fmamk_f32 v49, v4, 0x3f5db3d7, v48
	v_fmac_f32_e32 v48, 0xbf5db3d7, v4
	v_fmac_f32_e32 v5, -0.5, v50
	v_mov_b32_e32 v50, 0x3cc
	v_add3_u32 v4, 0, v54, v53
	v_add_f32_e32 v54, v77, v72
	v_add_f32_e32 v53, v57, v80
	v_sub_f32_e32 v57, v89, v87
	v_mul_u32_u24_sdwa v58, v115, v50 dst_sel:DWORD dst_unused:UNUSED_PAD src0_sel:WORD_0 src1_sel:DWORD
	ds_read2_b32 v[45:46], v86 offset0:122 offset1:185
	v_fma_f32 v54, -0.5, v54, v2
	s_waitcnt lgkmcnt(0)
	v_fmamk_f32 v62, v57, 0x3f5db3d7, v5
	v_fmac_f32_e32 v5, 0xbf5db3d7, v57
	v_add3_u32 v2, 0, v58, v59
	v_add_f32_e32 v57, v60, v72
	v_fmamk_f32 v58, v61, 0x3f5db3d7, v54
	s_barrier
	buffer_gl0_inv
	ds_write2_b32 v30, v41, v49 offset1:81
	ds_write_b32 v30, v48 offset:648
	ds_write2_b32 v4, v53, v62 offset1:81
	ds_write_b32 v4, v5 offset:648
	ds_write2_b32 v2, v57, v58 offset1:81
	v_add_f32_e32 v5, v13, v35
	v_mul_u32_u24_sdwa v41, v112, v50 dst_sel:DWORD dst_unused:UNUSED_PAD src0_sel:WORD_0 src1_sel:DWORD
	v_lshlrev_b32_sdwa v48, v47, v114 dst_sel:DWORD dst_unused:UNUSED_PAD src0_sel:DWORD src1_sel:BYTE_0
	v_add_f32_e32 v49, v3, v13
	v_sub_f32_e32 v50, v34, v51
	v_fmac_f32_e32 v3, -0.5, v5
	v_fmac_f32_e32 v54, 0xbf5db3d7, v61
	v_add3_u32 v5, 0, v41, v48
	v_add_f32_e32 v41, v14, v15
	v_add_f32_e32 v48, v49, v35
	v_fmamk_f32 v49, v50, 0x3f5db3d7, v3
	v_fmac_f32_e32 v3, 0xbf5db3d7, v50
	v_add_f32_e32 v50, v0, v14
	v_fma_f32 v41, -0.5, v41, v0
	v_sub_f32_e32 v53, v33, v32
	v_lshl_add_u32 v0, v113, 2, 0
	ds_write_b32 v2, v54 offset:648
	ds_write2_b32 v5, v48, v49 offset1:81
	ds_write_b32 v5, v3 offset:648
	v_add_f32_e32 v48, v50, v15
	v_fmamk_f32 v49, v53, 0x3f5db3d7, v41
	v_add_nc_u32_e32 v3, 0xa00, v0
	v_add_f32_e32 v50, v28, v16
	v_mul_u32_u24_e32 v54, 0x3cc, v110
	v_lshlrev_b32_sdwa v57, v47, v111 dst_sel:DWORD dst_unused:UNUSED_PAD src0_sel:DWORD src1_sel:WORD_0
	v_add_f32_e32 v58, v1, v28
	ds_write2_b32 v3, v48, v49 offset0:89 offset1:170
	v_add_f32_e32 v49, v27, v25
	v_fmac_f32_e32 v1, -0.5, v50
	v_sub_f32_e32 v50, v31, v29
	v_fmac_f32_e32 v41, 0xbf5db3d7, v53
	v_add3_u32 v93, 0, v54, v57
	v_mul_u32_u24_e32 v53, 0x3cc, v106
	v_lshlrev_b32_sdwa v54, v47, v109 dst_sel:DWORD dst_unused:UNUSED_PAD src0_sel:DWORD src1_sel:WORD_0
	v_add_f32_e32 v57, v42, v27
	v_fma_f32 v49, -0.5, v49, v42
	v_sub_f32_e32 v42, v26, v24
	v_add_f32_e32 v48, v58, v16
	v_fmamk_f32 v58, v50, 0x3f5db3d7, v1
	v_fmac_f32_e32 v1, 0xbf5db3d7, v50
	v_add3_u32 v94, 0, v53, v54
	v_add_f32_e32 v50, v57, v25
	v_fmamk_f32 v53, v42, 0x3f5db3d7, v49
	ds_write_b32 v0, v41 offset:3564
	ds_write2_b32 v93, v48, v58 offset1:81
	ds_write_b32 v93, v1 offset:648
	v_add_f32_e32 v1, v22, v23
	v_fmac_f32_e32 v49, 0xbf5db3d7, v42
	v_add_f32_e32 v42, v21, v19
	ds_write2_b32 v94, v50, v53 offset1:81
	v_add_f32_e32 v41, v43, v22
	v_fmac_f32_e32 v43, -0.5, v1
	v_sub_f32_e32 v48, v20, v17
	v_lshlrev_b32_sdwa v47, v47, v108 dst_sel:DWORD dst_unused:UNUSED_PAD src0_sel:DWORD src1_sel:WORD_0
	v_mul_u32_u24_e32 v53, 0x3cc, v105
	v_add_f32_e32 v50, v40, v21
	v_fmac_f32_e32 v40, -0.5, v42
	v_sub_f32_e32 v54, v18, v12
	v_lshl_add_u32 v1, v69, 2, 0
	v_add_f32_e32 v41, v41, v23
	v_fmamk_f32 v42, v48, 0x3f5db3d7, v43
	v_add3_u32 v98, 0, v53, v47
	v_fmac_f32_e32 v43, 0xbf5db3d7, v48
	v_fmamk_f32 v47, v54, 0x3f5db3d7, v40
	v_add_f32_e32 v50, v50, v19
	v_add_nc_u32_e32 v100, 0x1600, v1
	v_fmac_f32_e32 v40, 0xbf5db3d7, v54
	ds_write_b32 v94, v49 offset:648
	ds_write2_b32 v98, v41, v42 offset1:81
	ds_write_b32 v98, v43 offset:648
	ds_write2_b32 v100, v50, v47 offset0:50 offset1:131
	ds_write_b32 v1, v40 offset:6480
	s_waitcnt lgkmcnt(0)
	s_barrier
	buffer_gl0_inv
	ds_read_b32 v99, v30 offset:6336
	ds_read2_b32 v[53:54], v30 offset1:63
	ds_read2_b32 v[57:58], v30 offset0:126 offset1:243
	ds_read2_b32 v[59:60], v79 offset0:102 offset1:165
	ds_read2_b32 v[75:76], v81 offset0:100 offset1:217
	ds_read2_b32 v[61:62], v82 offset0:76 offset1:139
	ds_read2_b32 v[73:74], v52 offset0:74 offset1:191
	ds_read2_b32 v[67:68], v85 offset0:178 offset1:241
	ds_read2_b32 v[69:70], v86 offset0:50 offset1:113
	ds_read2_b32 v[65:66], v84 offset0:24 offset1:87
	ds_read2_b32 v[63:64], v83 offset0:126 offset1:189
	v_cmp_gt_u32_e64 s0, 54, v95
                                        ; implicit-def: $vgpr97
	s_and_saveexec_b32 s1, s0
	s_cbranch_execz .LBB0_15
; %bb.14:
	v_add_nc_u32_e32 v40, 0xa80, v30
	v_add_nc_u32_e32 v41, 0x2e0, v30
	ds_read2_b32 v[49:50], v40 offset0:3 offset1:246
	ds_read2_b32 v[47:48], v83 offset0:9 offset1:252
	ds_read_b32 v97, v30 offset:6588
	ds_read2_b32 v[41:42], v41 offset0:5 offset1:248
	s_waitcnt lgkmcnt(3)
	v_mov_b32_e32 v43, v49
	s_waitcnt lgkmcnt(2)
	v_mov_b32_e32 v40, v48
.LBB0_15:
	s_or_b32 exec_lo, exec_lo, s1
	v_add_f32_e32 v48, v92, v88
	v_add_f32_e32 v49, v10, v92
	v_sub_f32_e32 v90, v90, v91
	v_add_f32_e32 v91, v89, v87
	v_sub_f32_e32 v13, v13, v35
	v_fma_f32 v10, -0.5, v48, v10
	v_add_f32_e32 v48, v11, v89
	v_add_f32_e32 v88, v49, v88
	v_fmac_f32_e32 v11, -0.5, v91
	v_sub_f32_e32 v49, v78, v80
	v_add_f32_e32 v89, v71, v56
	v_add_f32_e32 v78, v48, v87
	;; [unrolled: 1-line block ×3, first 2 shown]
	v_sub_f32_e32 v71, v77, v72
	v_fmamk_f32 v72, v49, 0xbf5db3d7, v11
	v_fmac_f32_e32 v11, 0x3f5db3d7, v49
	v_add_f32_e32 v49, v33, v32
	v_add_f32_e32 v56, v48, v56
	;; [unrolled: 1-line block ×5, first 2 shown]
	v_fma_f32 v6, -0.5, v49, v6
	v_sub_f32_e32 v14, v14, v15
	v_fmac_f32_e32 v9, -0.5, v48
	v_sub_f32_e32 v16, v28, v16
	v_sub_f32_e32 v25, v27, v25
	v_fma_f32 v8, -0.5, v89, v8
	v_fmamk_f32 v91, v90, 0xbf5db3d7, v10
	v_fmamk_f32 v15, v13, 0xbf5db3d7, v9
	v_fmac_f32_e32 v9, 0x3f5db3d7, v13
	v_add_f32_e32 v13, v33, v32
	v_add_f32_e32 v32, v31, v29
	v_fmamk_f32 v33, v14, 0xbf5db3d7, v6
	v_fmac_f32_e32 v6, 0x3f5db3d7, v14
	v_add_f32_e32 v14, v26, v24
	v_add_f32_e32 v31, v7, v31
	v_fmac_f32_e32 v7, -0.5, v32
	v_add_f32_e32 v26, v45, v26
	v_sub_f32_e32 v22, v22, v23
	v_fma_f32 v14, -0.5, v14, v45
	v_sub_f32_e32 v19, v21, v19
	v_fmamk_f32 v27, v16, 0xbf5db3d7, v7
	v_fmac_f32_e32 v7, 0x3f5db3d7, v16
	v_add_f32_e32 v16, v26, v24
	v_add_f32_e32 v24, v20, v17
	v_fmamk_f32 v26, v25, 0xbf5db3d7, v14
	v_fmac_f32_e32 v14, 0x3f5db3d7, v25
	v_add_f32_e32 v25, v18, v12
	v_add_f32_e32 v20, v46, v20
	v_fmac_f32_e32 v46, -0.5, v24
	v_add_f32_e32 v18, v44, v18
	v_fmac_f32_e32 v10, 0x3f5db3d7, v90
	v_fmac_f32_e32 v44, -0.5, v25
	v_fmamk_f32 v77, v71, 0xbf5db3d7, v8
	v_fmac_f32_e32 v8, 0x3f5db3d7, v71
	v_add_f32_e32 v34, v34, v51
	v_add_f32_e32 v28, v31, v29
	v_add_f32_e32 v48, v20, v17
	v_fmamk_f32 v49, v22, 0xbf5db3d7, v46
	v_fmac_f32_e32 v46, 0x3f5db3d7, v22
	v_add_f32_e32 v45, v18, v12
	v_fmamk_f32 v51, v19, 0xbf5db3d7, v44
	v_fmac_f32_e32 v44, 0x3f5db3d7, v19
	s_waitcnt lgkmcnt(0)
	s_barrier
	buffer_gl0_inv
	ds_write2_b32 v30, v88, v91 offset1:81
	ds_write_b32 v30, v10 offset:648
	ds_write2_b32 v4, v78, v72 offset1:81
	ds_write_b32 v4, v11 offset:648
	;; [unrolled: 2-line block ×4, first 2 shown]
	ds_write2_b32 v3, v13, v33 offset0:89 offset1:170
	ds_write_b32 v0, v6 offset:3564
	ds_write2_b32 v93, v28, v27 offset1:81
	ds_write_b32 v93, v7 offset:648
	ds_write2_b32 v94, v16, v26 offset1:81
	;; [unrolled: 2-line block ×3, first 2 shown]
	ds_write_b32 v98, v46 offset:648
	ds_write2_b32 v100, v45, v51 offset0:50 offset1:131
	ds_write_b32 v1, v44 offset:6480
	s_waitcnt lgkmcnt(0)
	s_barrier
	buffer_gl0_inv
	ds_read2_b32 v[71:72], v30 offset1:63
	ds_read2_b32 v[77:78], v30 offset0:126 offset1:243
	ds_read2_b32 v[79:80], v79 offset0:102 offset1:165
	;; [unrolled: 1-line block ×9, first 2 shown]
	ds_read_b32 v100, v30 offset:6336
                                        ; implicit-def: $vgpr98
	s_and_saveexec_b32 s1, s0
	s_cbranch_execz .LBB0_17
; %bb.16:
	v_add_nc_u32_e32 v0, 0xa80, v30
	v_add_nc_u32_e32 v1, 0x1200, v30
	;; [unrolled: 1-line block ×3, first 2 shown]
	ds_read2_b32 v[44:45], v0 offset0:3 offset1:246
	ds_read2_b32 v[51:52], v1 offset0:9 offset1:252
	ds_read_b32 v98, v30 offset:6588
	ds_read2_b32 v[48:49], v2 offset0:5 offset1:248
	s_waitcnt lgkmcnt(3)
	v_mov_b32_e32 v46, v44
	s_waitcnt lgkmcnt(2)
	v_mov_b32_e32 v44, v52
.LBB0_17:
	s_or_b32 exec_lo, exec_lo, s1
	s_and_saveexec_b32 s1, vcc_lo
	s_cbranch_execz .LBB0_20
; %bb.18:
	v_mul_u32_u24_e32 v0, 6, v55
	v_mul_u32_u24_e32 v1, 6, v95
	v_mad_u32_u24 v55, v55, 6, 0xfffffe86
	v_mov_b32_e32 v56, 0
	v_add_nc_u32_e32 v102, 63, v95
	v_lshlrev_b32_e32 v0, 3, v0
	v_mul_lo_u32 v52, s3, v38
	v_mul_lo_u32 v101, s2, v39
	v_mad_u64_u32 v[38:39], null, s2, v38, 0
	s_clause 0x2
	global_load_dwordx4 v[24:27], v0, s[8:9] offset:1920
	global_load_dwordx4 v[28:31], v0, s[8:9] offset:1952
	;; [unrolled: 1-line block ×3, first 2 shown]
	v_lshlrev_b32_e32 v0, 3, v1
	v_mul_hi_u32 v103, 0x86d90545, v102
	v_lshlrev_b64 v[36:37], 3, v[36:37]
	s_clause 0x2
	global_load_dwordx4 v[12:15], v0, s[8:9] offset:1920
	global_load_dwordx4 v[16:19], v0, s[8:9] offset:1952
	;; [unrolled: 1-line block ×3, first 2 shown]
	v_lshlrev_b64 v[0:1], 3, v[55:56]
	v_mul_hi_u32 v55, 0x86d90545, v95
	v_add3_u32 v39, v39, v101, v52
	v_add_co_u32 v8, vcc_lo, s8, v0
	v_add_co_ci_u32_e32 v9, vcc_lo, s9, v1, vcc_lo
	v_lshrrev_b32_e32 v55, 7, v55
	s_clause 0x2
	global_load_dwordx4 v[0:3], v[8:9], off offset:1920
	global_load_dwordx4 v[4:7], v[8:9], off offset:1952
	;; [unrolled: 1-line block ×3, first 2 shown]
	v_lshlrev_b64 v[38:39], 3, v[38:39]
	v_mul_lo_u32 v52, 0xf3, v55
	v_lshrrev_b32_e32 v55, 7, v103
	v_add_co_u32 v38, vcc_lo, s14, v38
	v_mul_lo_u32 v101, 0xf3, v55
	v_sub_nc_u32_e32 v52, v95, v52
	v_add_co_ci_u32_e32 v39, vcc_lo, s15, v39, vcc_lo
	v_add_co_u32 v38, vcc_lo, v38, v36
	v_lshlrev_b32_e32 v103, 3, v52
	v_add_co_ci_u32_e32 v39, vcc_lo, v39, v37, vcc_lo
	v_sub_nc_u32_e32 v52, v102, v101
	v_add_co_u32 v36, vcc_lo, v38, v103
	v_add_co_ci_u32_e32 v37, vcc_lo, 0, v39, vcc_lo
	v_mad_u64_u32 v[101:102], null, 0x6a5, v55, v[52:53]
	v_add_co_u32 v102, vcc_lo, 0x800, v36
	v_add_co_ci_u32_e32 v103, vcc_lo, 0, v37, vcc_lo
	v_add_co_u32 v104, vcc_lo, 0x1000, v36
	v_add_co_ci_u32_e32 v105, vcc_lo, 0, v37, vcc_lo
	;; [unrolled: 2-line block ×3, first 2 shown]
	s_waitcnt vmcnt(8) lgkmcnt(3)
	v_mul_f32_e32 v52, v86, v25
	s_waitcnt vmcnt(7) lgkmcnt(0)
	v_mul_f32_e32 v55, v100, v31
	s_waitcnt vmcnt(6)
	v_mul_f32_e32 v108, v93, v35
	v_mul_f32_e32 v109, v88, v33
	;; [unrolled: 1-line block ×10, first 2 shown]
	s_waitcnt vmcnt(5)
	v_mul_f32_e32 v112, v78, v13
	s_waitcnt vmcnt(4)
	v_mul_f32_e32 v113, v89, v19
	;; [unrolled: 2-line block ×3, first 2 shown]
	v_mul_f32_e32 v115, v92, v21
	v_mul_f32_e32 v116, v79, v15
	;; [unrolled: 1-line block ×9, first 2 shown]
	v_fma_f32 v73, v73, v34, -v108
	v_fma_f32 v66, v66, v32, -v109
	v_fmac_f32_e32 v33, v88, v32
	v_fmac_f32_e32 v35, v93, v34
	v_fma_f32 v32, v99, v30, -v55
	v_fmac_f32_e32 v31, v100, v30
	v_fma_f32 v30, v64, v28, -v111
	;; [unrolled: 2-line block ×3, first 2 shown]
	v_fma_f32 v34, v75, v26, -v110
	v_fmac_f32_e32 v25, v86, v24
	v_fmac_f32_e32 v27, v91, v26
	v_fma_f32 v24, v76, v20, -v115
	v_fma_f32 v26, v58, v12, -v112
	;; [unrolled: 1-line block ×6, first 2 shown]
	v_fmac_f32_e32 v19, v89, v18
	v_fmac_f32_e32 v13, v78, v12
	;; [unrolled: 1-line block ×6, first 2 shown]
	s_waitcnt vmcnt(2)
	v_mul_f32_e32 v12, v85, v1
	s_waitcnt vmcnt(1)
	v_mul_f32_e32 v14, v90, v7
	;; [unrolled: 2-line block ×3, first 2 shown]
	v_mul_f32_e32 v18, v87, v9
	v_mul_f32_e32 v20, v80, v3
	v_mul_f32_e32 v22, v83, v5
	v_mul_f32_e32 v7, v68, v7
	v_mul_f32_e32 v1, v69, v1
	v_mul_f32_e32 v5, v63, v5
	v_mul_f32_e32 v3, v60, v3
	v_mul_f32_e32 v9, v65, v9
	v_mul_f32_e32 v11, v62, v11
	v_sub_f32_e32 v61, v28, v32
	v_sub_f32_e32 v64, v73, v66
	;; [unrolled: 1-line block ×3, first 2 shown]
	v_add_f32_e32 v70, v25, v31
	v_add_f32_e32 v74, v35, v33
	;; [unrolled: 1-line block ×6, first 2 shown]
	v_sub_f32_e32 v25, v25, v31
	v_sub_f32_e32 v31, v35, v33
	;; [unrolled: 1-line block ×6, first 2 shown]
	v_add_f32_e32 v35, v13, v19
	v_add_f32_e32 v66, v23, v21
	;; [unrolled: 1-line block ×6, first 2 shown]
	v_sub_f32_e32 v13, v13, v19
	v_sub_f32_e32 v19, v23, v21
	;; [unrolled: 1-line block ×3, first 2 shown]
	v_fma_f32 v12, v69, v0, -v12
	v_fma_f32 v14, v68, v6, -v14
	;; [unrolled: 1-line block ×6, first 2 shown]
	v_fmac_f32_e32 v7, v90, v6
	v_fmac_f32_e32 v1, v85, v0
	;; [unrolled: 1-line block ×6, first 2 shown]
	v_sub_f32_e32 v2, v61, v64
	v_sub_f32_e32 v0, v64, v67
	v_add_f32_e32 v4, v64, v67
	v_sub_f32_e32 v6, v70, v74
	v_sub_f32_e32 v8, v74, v75
	v_add_f32_e32 v10, v70, v75
	;; [unrolled: 3-line block ×4, first 2 shown]
	v_sub_f32_e32 v59, v67, v61
	v_sub_f32_e32 v60, v75, v70
	;; [unrolled: 1-line block ×6, first 2 shown]
	v_add_f32_e32 v33, v33, v34
	v_sub_f32_e32 v63, v35, v66
	v_sub_f32_e32 v64, v66, v73
	v_add_f32_e32 v65, v35, v73
	v_sub_f32_e32 v67, v26, v24
	v_sub_f32_e32 v68, v24, v52
	;; [unrolled: 3-line block ×4, first 2 shown]
	v_sub_f32_e32 v26, v52, v26
	v_sub_f32_e32 v52, v12, v14
	;; [unrolled: 1-line block ×3, first 2 shown]
	v_add_f32_e32 v78, v1, v7
	v_add_f32_e32 v80, v3, v5
	;; [unrolled: 1-line block ×5, first 2 shown]
	v_sub_f32_e32 v15, v15, v13
	v_sub_f32_e32 v76, v18, v20
	v_add_f32_e32 v79, v11, v9
	v_sub_f32_e32 v7, v1, v7
	v_sub_f32_e32 v1, v11, v9
	;; [unrolled: 1-line block ×3, first 2 shown]
	v_mul_f32_e32 v5, 0xbf08b237, v0
	v_add_f32_e32 v4, v61, v4
	v_add_f32_e32 v10, v74, v10
	v_mul_f32_e32 v17, 0x3d64c772, v22
	v_add_f32_e32 v18, v32, v23
	v_mul_f32_e32 v20, 0xbf08b237, v58
	;; [unrolled: 2-line block ×3, first 2 shown]
	v_mul_f32_e32 v25, 0x3f5ff5aa, v27
	v_mul_f32_e32 v31, 0xbf08b237, v62
	v_add_f32_e32 v29, v29, v33
	v_mul_f32_e32 v32, 0x3f4a47b2, v63
	v_mul_f32_e32 v33, 0x3d64c772, v64
	v_add_f32_e32 v58, v66, v65
	v_mul_f32_e32 v61, 0x3f4a47b2, v67
	v_add_f32_e32 v24, v24, v69
	;; [unrolled: 2-line block ×4, first 2 shown]
	v_add_f32_e32 v83, v12, v16
	v_mul_f32_e32 v9, 0x3f4a47b2, v6
	v_mul_f32_e32 v8, 0x3d64c772, v8
	;; [unrolled: 1-line block ×5, first 2 shown]
	v_sub_f32_e32 v66, v52, v73
	v_sub_f32_e32 v68, v73, v76
	v_add_f32_e32 v69, v73, v76
	v_sub_f32_e32 v73, v78, v79
	v_sub_f32_e32 v74, v79, v80
	;; [unrolled: 1-line block ×6, first 2 shown]
	v_add_f32_e32 v86, v1, v3
	v_sub_f32_e32 v76, v76, v52
	v_sub_f32_e32 v78, v80, v78
	;; [unrolled: 1-line block ×4, first 2 shown]
	v_fmamk_f32 v80, v2, 0x3eae86e6, v5
	v_add_f32_e32 v1, v77, v10
	v_add_f32_e32 v0, v57, v18
	v_fmamk_f32 v57, v55, 0x3eae86e6, v20
	v_fma_f32 v23, 0xbeae86e6, v2, -v23
	v_fma_f32 v25, 0xbeae86e6, v55, -v25
	;; [unrolled: 1-line block ×4, first 2 shown]
	v_fmamk_f32 v27, v30, 0x3eae86e6, v31
	v_add_f32_e32 v3, v71, v58
	v_add_f32_e32 v2, v53, v24
	v_fma_f32 v30, 0xbeae86e6, v30, -v19
	v_fma_f32 v19, 0xbf3bfb3b, v35, -v32
	;; [unrolled: 1-line block ×3, first 2 shown]
	v_add_f32_e32 v61, v79, v75
	v_add_f32_e32 v14, v14, v83
	v_fmamk_f32 v6, v6, 0x3f4a47b2, v8
	v_fmamk_f32 v21, v21, 0x3f4a47b2, v17
	v_fma_f32 v9, 0xbf3bfb3b, v60, -v9
	v_fma_f32 v11, 0xbf3bfb3b, v28, -v11
	;; [unrolled: 1-line block ×4, first 2 shown]
	v_fmamk_f32 v17, v63, 0x3f4a47b2, v33
	v_fmamk_f32 v28, v67, 0x3f4a47b2, v62
	;; [unrolled: 1-line block ×3, first 2 shown]
	v_fma_f32 v59, 0xbeae86e6, v70, -v65
	v_fma_f32 v33, 0x3f3bfb3b, v35, -v33
	;; [unrolled: 1-line block ×5, first 2 shown]
	v_mul_f32_e32 v26, 0xbf08b237, v68
	v_add_f32_e32 v35, v52, v69
	v_mul_f32_e32 v52, 0x3f4a47b2, v73
	v_mul_f32_e32 v60, 0x3d64c772, v74
	;; [unrolled: 1-line block ×7, first 2 shown]
	v_fmac_f32_e32 v80, 0x3ee1c552, v4
	v_fmamk_f32 v10, v10, 0xbf955555, v1
	v_fmamk_f32 v18, v18, 0xbf955555, v0
	v_fmac_f32_e32 v57, 0x3ee1c552, v22
	v_fmac_f32_e32 v23, 0x3ee1c552, v4
	;; [unrolled: 1-line block ×5, first 2 shown]
	v_fmamk_f32 v4, v58, 0xbf955555, v3
	v_fmamk_f32 v22, v24, 0xbf955555, v2
	global_store_dwordx2 v[36:37], v[2:3], off
	v_add_f32_e32 v3, v72, v61
	v_add_f32_e32 v2, v54, v14
	;; [unrolled: 1-line block ×3, first 2 shown]
	v_fmac_f32_e32 v27, 0x3ee1c552, v29
	v_fmac_f32_e32 v53, 0x3ee1c552, v13
	;; [unrolled: 1-line block ×6, first 2 shown]
	v_fmamk_f32 v58, v66, 0x3eae86e6, v26
	v_fmamk_f32 v29, v73, 0x3f4a47b2, v60
	;; [unrolled: 1-line block ×4, first 2 shown]
	v_fma_f32 v65, 0xbeae86e6, v66, -v65
	v_fma_f32 v52, 0xbf3bfb3b, v78, -v52
	;; [unrolled: 1-line block ×8, first 2 shown]
	v_add_f32_e32 v16, v6, v10
	v_add_f32_e32 v21, v21, v18
	v_add_f32_e32 v12, v9, v10
	v_add_f32_e32 v24, v11, v18
	v_add_f32_e32 v10, v8, v10
	v_add_f32_e32 v13, v5, v18
	v_add_f32_e32 v26, v17, v4
	v_add_f32_e32 v28, v28, v22
	v_add_f32_e32 v69, v19, v4
	v_add_f32_e32 v32, v32, v22
	v_add_f32_e32 v33, v33, v4
	v_add_f32_e32 v22, v15, v22
	v_fmamk_f32 v61, v61, 0xbf955555, v3
	v_fmamk_f32 v70, v14, 0xbf955555, v2
	v_fmac_f32_e32 v58, 0x3ee1c552, v35
	v_fmac_f32_e32 v54, 0x3ee1c552, v7
	;; [unrolled: 1-line block ×6, first 2 shown]
	v_add_f32_e32 v5, v80, v16
	v_sub_f32_e32 v4, v21, v57
	v_add_f32_e32 v7, v23, v12
	v_sub_f32_e32 v6, v24, v25
	v_sub_f32_e32 v9, v10, v55
	v_add_f32_e32 v8, v20, v13
	v_add_f32_e32 v11, v55, v10
	v_sub_f32_e32 v10, v13, v20
	v_sub_f32_e32 v13, v12, v23
	v_add_f32_e32 v12, v25, v24
	v_sub_f32_e32 v15, v16, v80
	v_add_f32_e32 v14, v57, v21
	v_add_f32_e32 v17, v27, v26
	v_sub_f32_e32 v16, v28, v53
	v_add_f32_e32 v19, v30, v69
	v_sub_f32_e32 v18, v32, v59
	v_sub_f32_e32 v21, v33, v31
	v_add_f32_e32 v20, v34, v22
	v_add_f32_e32 v23, v31, v33
	v_sub_f32_e32 v22, v22, v34
	v_sub_f32_e32 v25, v69, v30
	v_add_f32_e32 v24, v59, v32
	v_sub_f32_e32 v27, v26, v27
	v_add_f32_e32 v26, v53, v28
	v_add_f32_e32 v32, v29, v61
	;; [unrolled: 1-line block ×7, first 2 shown]
	global_store_dwordx2 v[36:37], v[26:27], off offset:1944
	global_store_dwordx2 v[102:103], v[24:25], off offset:1840
	;; [unrolled: 1-line block ×3, first 2 shown]
	v_add_f32_e32 v23, v58, v32
	v_sub_f32_e32 v22, v34, v54
	v_add_f32_e32 v25, v65, v30
	v_sub_f32_e32 v24, v33, v66
	v_sub_f32_e32 v27, v28, v67
	v_add_f32_e32 v26, v64, v31
	v_add_f32_e32 v29, v67, v28
	v_sub_f32_e32 v28, v31, v64
	v_sub_f32_e32 v31, v30, v65
	v_add_f32_e32 v30, v66, v33
	v_sub_f32_e32 v33, v32, v58
	v_add_f32_e32 v32, v54, v34
	v_add_co_u32 v34, vcc_lo, 0x2000, v36
	v_add_co_ci_u32_e32 v35, vcc_lo, 0, v37, vcc_lo
	v_add_co_u32 v36, vcc_lo, 0x2800, v36
	v_add_co_ci_u32_e32 v37, vcc_lo, 0, v37, vcc_lo
	v_mov_b32_e32 v102, v56
	v_add_nc_u32_e32 v55, 0xf3, v101
	global_store_dwordx2 v[106:107], v[20:21], off offset:1632
	global_store_dwordx2 v[34:35], v[18:19], off offset:1528
	;; [unrolled: 1-line block ×3, first 2 shown]
	v_add_nc_u32_e32 v36, 0x7e, v95
	v_lshlrev_b64 v[18:19], 3, v[101:102]
	v_lshlrev_b64 v[16:17], 3, v[55:56]
	v_add_nc_u32_e32 v55, 0x1e6, v101
	v_mul_hi_u32 v37, 0x86d90545, v36
	v_add_co_u32 v18, vcc_lo, v38, v18
	v_lshlrev_b64 v[20:21], 3, v[55:56]
	v_add_co_ci_u32_e32 v19, vcc_lo, v39, v19, vcc_lo
	v_add_co_u32 v16, vcc_lo, v38, v16
	v_add_co_ci_u32_e32 v17, vcc_lo, v39, v17, vcc_lo
	v_add_co_u32 v20, vcc_lo, v38, v20
	v_lshrrev_b32_e32 v37, 7, v37
	v_add_co_ci_u32_e32 v21, vcc_lo, v39, v21, vcc_lo
	v_add_nc_u32_e32 v55, 0x2d9, v101
	global_store_dwordx2 v[18:19], v[2:3], off
	global_store_dwordx2 v[16:17], v[32:33], off
	;; [unrolled: 1-line block ×3, first 2 shown]
	v_mul_lo_u32 v20, 0xf3, v37
	v_lshlrev_b64 v[34:35], 3, v[55:56]
	v_add_nc_u32_e32 v55, 0x3cc, v101
	v_sub_nc_u32_e32 v20, v36, v20
	v_lshlrev_b64 v[2:3], 3, v[55:56]
	v_add_nc_u32_e32 v55, 0x4bf, v101
	v_add_co_u32 v16, vcc_lo, v38, v34
	v_mad_u64_u32 v[20:21], null, 0x6a5, v37, v[20:21]
	v_lshlrev_b64 v[18:19], 3, v[55:56]
	v_add_co_ci_u32_e32 v17, vcc_lo, v39, v35, vcc_lo
	v_add_co_u32 v2, vcc_lo, v38, v2
	v_add_nc_u32_e32 v55, 0x5b2, v101
	v_add_co_ci_u32_e32 v3, vcc_lo, v39, v3, vcc_lo
	v_add_co_u32 v18, vcc_lo, v38, v18
	v_mov_b32_e32 v21, v56
	v_add_co_ci_u32_e32 v19, vcc_lo, v39, v19, vcc_lo
	global_store_dwordx2 v[16:17], v[28:29], off
	v_lshlrev_b64 v[16:17], 3, v[55:56]
	v_add_nc_u32_e32 v55, 0xf3, v20
	global_store_dwordx2 v[2:3], v[26:27], off
	global_store_dwordx2 v[18:19], v[24:25], off
	v_lshlrev_b64 v[2:3], 3, v[20:21]
	v_lshlrev_b64 v[18:19], 3, v[55:56]
	v_add_nc_u32_e32 v55, 0x1e6, v20
	v_add_co_u32 v16, vcc_lo, v38, v16
	v_add_co_ci_u32_e32 v17, vcc_lo, v39, v17, vcc_lo
	v_add_co_u32 v2, vcc_lo, v38, v2
	v_lshlrev_b64 v[24:25], 3, v[55:56]
	v_add_nc_u32_e32 v55, 0x2d9, v20
	v_add_co_ci_u32_e32 v3, vcc_lo, v39, v3, vcc_lo
	v_add_co_u32 v18, vcc_lo, v38, v18
	v_add_co_ci_u32_e32 v19, vcc_lo, v39, v19, vcc_lo
	v_lshlrev_b64 v[26:27], 3, v[55:56]
	v_add_nc_u32_e32 v55, 0x3cc, v20
	v_add_co_u32 v24, vcc_lo, v38, v24
	v_add_co_ci_u32_e32 v25, vcc_lo, v39, v25, vcc_lo
	global_store_dwordx2 v[16:17], v[22:23], off
	global_store_dwordx2 v[2:3], v[0:1], off
	global_store_dwordx2 v[18:19], v[14:15], off
	global_store_dwordx2 v[24:25], v[12:13], off
	v_lshlrev_b64 v[0:1], 3, v[55:56]
	v_add_nc_u32_e32 v55, 0x4bf, v20
	v_add_co_u32 v2, vcc_lo, v38, v26
	v_add_co_ci_u32_e32 v3, vcc_lo, v39, v27, vcc_lo
	v_lshlrev_b64 v[12:13], 3, v[55:56]
	v_add_nc_u32_e32 v55, 0x5b2, v20
	v_add_co_u32 v14, vcc_lo, v38, v0
	v_add_co_ci_u32_e32 v15, vcc_lo, v39, v1, vcc_lo
	v_lshlrev_b64 v[16:17], 3, v[55:56]
	v_add_co_u32 v12, vcc_lo, v38, v12
	v_add_nc_u32_e32 v0, 0xbd, v95
	v_add_co_ci_u32_e32 v13, vcc_lo, v39, v13, vcc_lo
	v_add_co_u32 v16, vcc_lo, v38, v16
	v_add_co_ci_u32_e32 v17, vcc_lo, v39, v17, vcc_lo
	v_cmp_gt_u32_e32 vcc_lo, 0xf3, v0
	global_store_dwordx2 v[2:3], v[10:11], off
	global_store_dwordx2 v[14:15], v[8:9], off
	;; [unrolled: 1-line block ×4, first 2 shown]
	s_and_b32 exec_lo, exec_lo, vcc_lo
	s_cbranch_execz .LBB0_20
; %bb.19:
	v_subrev_nc_u32_e32 v1, 54, v95
	v_cndmask_b32_e64 v1, v1, v96, s0
	v_mul_i32_i24_e32 v55, 6, v1
	v_lshlrev_b64 v[1:2], 3, v[55:56]
	v_add_nc_u32_e32 v55, 0x1b0, v95
	v_lshlrev_b64 v[14:15], 3, v[55:56]
	v_add_co_u32 v10, vcc_lo, s8, v1
	v_add_co_ci_u32_e32 v11, vcc_lo, s9, v2, vcc_lo
	v_add_nc_u32_e32 v55, 0x2a3, v95
	v_mov_b32_e32 v1, v56
	s_clause 0x2
	global_load_dwordx4 v[2:5], v[10:11], off offset:1920
	global_load_dwordx4 v[6:9], v[10:11], off offset:1936
	;; [unrolled: 1-line block ×3, first 2 shown]
	v_lshlrev_b64 v[16:17], 3, v[55:56]
	v_add_nc_u32_e32 v55, 0x396, v95
	v_lshlrev_b64 v[0:1], 3, v[0:1]
	v_lshlrev_b64 v[18:19], 3, v[55:56]
	v_add_nc_u32_e32 v55, 0x489, v95
	v_add_co_u32 v0, vcc_lo, v38, v0
	v_add_co_ci_u32_e32 v1, vcc_lo, v39, v1, vcc_lo
	v_lshlrev_b64 v[20:21], 3, v[55:56]
	v_add_nc_u32_e32 v55, 0x57c, v95
	v_add_co_u32 v14, vcc_lo, v38, v14
	v_add_co_ci_u32_e32 v15, vcc_lo, v39, v15, vcc_lo
	v_add_co_u32 v16, vcc_lo, v38, v16
	v_lshlrev_b64 v[22:23], 3, v[55:56]
	v_add_nc_u32_e32 v55, 0x66f, v95
	v_add_co_ci_u32_e32 v17, vcc_lo, v39, v17, vcc_lo
	v_add_co_u32 v18, vcc_lo, v38, v18
	v_add_co_ci_u32_e32 v19, vcc_lo, v39, v19, vcc_lo
	v_add_co_u32 v20, vcc_lo, v38, v20
	v_lshlrev_b64 v[24:25], 3, v[55:56]
	v_add_co_ci_u32_e32 v21, vcc_lo, v39, v21, vcc_lo
	v_add_co_u32 v22, vcc_lo, v38, v22
	v_add_co_ci_u32_e32 v23, vcc_lo, v39, v23, vcc_lo
	v_add_co_u32 v24, vcc_lo, v38, v24
	v_add_co_ci_u32_e32 v25, vcc_lo, v39, v25, vcc_lo
	s_waitcnt vmcnt(2)
	v_mul_f32_e32 v26, v49, v3
	v_mul_f32_e32 v3, v42, v3
	v_mul_f32_e32 v27, v46, v5
	v_mul_f32_e32 v5, v43, v5
	s_waitcnt vmcnt(1)
	v_mul_f32_e32 v28, v45, v7
	v_mul_f32_e32 v7, v50, v7
	v_mul_f32_e32 v29, v51, v9
	v_mul_f32_e32 v9, v47, v9
	;; [unrolled: 5-line block ×3, first 2 shown]
	v_fma_f32 v26, v42, v2, -v26
	v_fmac_f32_e32 v3, v49, v2
	v_fma_f32 v2, v43, v4, -v27
	v_fmac_f32_e32 v5, v46, v4
	;; [unrolled: 2-line block ×3, first 2 shown]
	v_fma_f32 v6, v47, v8, -v29
	v_fma_f32 v27, v97, v12, -v31
	v_fmac_f32_e32 v13, v98, v12
	v_fmac_f32_e32 v9, v51, v8
	v_fma_f32 v8, v40, v10, -v30
	v_fmac_f32_e32 v11, v44, v10
	v_add_f32_e32 v10, v26, v27
	v_add_f32_e32 v12, v3, v13
	v_sub_f32_e32 v26, v26, v27
	v_sub_f32_e32 v3, v3, v13
	v_add_f32_e32 v13, v2, v8
	v_add_f32_e32 v27, v5, v11
	v_sub_f32_e32 v2, v2, v8
	v_sub_f32_e32 v5, v5, v11
	;; [unrolled: 4-line block ×4, first 2 shown]
	v_sub_f32_e32 v10, v10, v8
	v_sub_f32_e32 v12, v12, v11
	;; [unrolled: 1-line block ×4, first 2 shown]
	v_add_f32_e32 v30, v4, v2
	v_add_f32_e32 v31, v6, v5
	v_sub_f32_e32 v32, v4, v2
	v_sub_f32_e32 v33, v6, v5
	;; [unrolled: 1-line block ×4, first 2 shown]
	v_add_f32_e32 v7, v8, v7
	v_add_f32_e32 v8, v11, v9
	v_sub_f32_e32 v4, v26, v4
	v_sub_f32_e32 v6, v3, v6
	v_add_f32_e32 v9, v30, v26
	v_add_f32_e32 v11, v31, v3
	v_mul_f32_e32 v10, 0x3f4a47b2, v10
	v_mul_f32_e32 v12, 0x3f4a47b2, v12
	;; [unrolled: 1-line block ×8, first 2 shown]
	v_add_f32_e32 v2, v41, v7
	v_add_f32_e32 v3, v48, v8
	v_fmamk_f32 v13, v13, 0x3d64c772, v10
	v_fmamk_f32 v27, v27, 0x3d64c772, v12
	v_fma_f32 v26, 0x3f3bfb3b, v28, -v26
	v_fma_f32 v30, 0x3f3bfb3b, v29, -v30
	;; [unrolled: 1-line block ×4, first 2 shown]
	v_fmamk_f32 v28, v4, 0x3eae86e6, v31
	v_fmamk_f32 v29, v6, 0x3eae86e6, v32
	v_fma_f32 v31, 0x3f5ff5aa, v34, -v31
	v_fma_f32 v32, 0x3f5ff5aa, v5, -v32
	;; [unrolled: 1-line block ×4, first 2 shown]
	v_fmamk_f32 v4, v7, 0xbf955555, v2
	v_fmamk_f32 v5, v8, 0xbf955555, v3
	v_fmac_f32_e32 v28, 0x3ee1c552, v9
	v_fmac_f32_e32 v29, 0x3ee1c552, v11
	;; [unrolled: 1-line block ×4, first 2 shown]
	v_add_f32_e32 v11, v13, v4
	v_add_f32_e32 v13, v27, v5
	v_fmac_f32_e32 v31, 0x3ee1c552, v9
	v_fmac_f32_e32 v33, 0x3ee1c552, v9
	v_add_f32_e32 v8, v10, v4
	v_add_f32_e32 v9, v12, v5
	;; [unrolled: 1-line block ×4, first 2 shown]
	global_store_dwordx2 v[0:1], v[2:3], off
	v_add_f32_e32 v0, v29, v11
	v_sub_f32_e32 v1, v13, v28
	v_add_f32_e32 v2, v34, v8
	v_sub_f32_e32 v3, v9, v33
	v_sub_f32_e32 v4, v6, v32
	v_add_f32_e32 v5, v31, v7
	v_add_f32_e32 v6, v32, v6
	v_sub_f32_e32 v7, v7, v31
	v_sub_f32_e32 v8, v8, v34
	v_add_f32_e32 v9, v33, v9
	v_sub_f32_e32 v10, v11, v29
	v_add_f32_e32 v11, v28, v13
	global_store_dwordx2 v[14:15], v[0:1], off
	global_store_dwordx2 v[16:17], v[2:3], off
	;; [unrolled: 1-line block ×6, first 2 shown]
.LBB0_20:
	s_endpgm
	.section	.rodata,"a",@progbits
	.p2align	6, 0x0
	.amdhsa_kernel fft_rtc_fwd_len1701_factors_3_3_3_3_3_7_wgs_63_tpt_63_halfLds_sp_op_CI_CI_unitstride_sbrr_dirReg
		.amdhsa_group_segment_fixed_size 0
		.amdhsa_private_segment_fixed_size 0
		.amdhsa_kernarg_size 104
		.amdhsa_user_sgpr_count 6
		.amdhsa_user_sgpr_private_segment_buffer 1
		.amdhsa_user_sgpr_dispatch_ptr 0
		.amdhsa_user_sgpr_queue_ptr 0
		.amdhsa_user_sgpr_kernarg_segment_ptr 1
		.amdhsa_user_sgpr_dispatch_id 0
		.amdhsa_user_sgpr_flat_scratch_init 0
		.amdhsa_user_sgpr_private_segment_size 0
		.amdhsa_wavefront_size32 1
		.amdhsa_uses_dynamic_stack 0
		.amdhsa_system_sgpr_private_segment_wavefront_offset 0
		.amdhsa_system_sgpr_workgroup_id_x 1
		.amdhsa_system_sgpr_workgroup_id_y 0
		.amdhsa_system_sgpr_workgroup_id_z 0
		.amdhsa_system_sgpr_workgroup_info 0
		.amdhsa_system_vgpr_workitem_id 0
		.amdhsa_next_free_vgpr 134
		.amdhsa_next_free_sgpr 27
		.amdhsa_reserve_vcc 1
		.amdhsa_reserve_flat_scratch 0
		.amdhsa_float_round_mode_32 0
		.amdhsa_float_round_mode_16_64 0
		.amdhsa_float_denorm_mode_32 3
		.amdhsa_float_denorm_mode_16_64 3
		.amdhsa_dx10_clamp 1
		.amdhsa_ieee_mode 1
		.amdhsa_fp16_overflow 0
		.amdhsa_workgroup_processor_mode 1
		.amdhsa_memory_ordered 1
		.amdhsa_forward_progress 0
		.amdhsa_shared_vgpr_count 0
		.amdhsa_exception_fp_ieee_invalid_op 0
		.amdhsa_exception_fp_denorm_src 0
		.amdhsa_exception_fp_ieee_div_zero 0
		.amdhsa_exception_fp_ieee_overflow 0
		.amdhsa_exception_fp_ieee_underflow 0
		.amdhsa_exception_fp_ieee_inexact 0
		.amdhsa_exception_int_div_zero 0
	.end_amdhsa_kernel
	.text
.Lfunc_end0:
	.size	fft_rtc_fwd_len1701_factors_3_3_3_3_3_7_wgs_63_tpt_63_halfLds_sp_op_CI_CI_unitstride_sbrr_dirReg, .Lfunc_end0-fft_rtc_fwd_len1701_factors_3_3_3_3_3_7_wgs_63_tpt_63_halfLds_sp_op_CI_CI_unitstride_sbrr_dirReg
                                        ; -- End function
	.section	.AMDGPU.csdata,"",@progbits
; Kernel info:
; codeLenInByte = 16384
; NumSgprs: 29
; NumVgprs: 134
; ScratchSize: 0
; MemoryBound: 0
; FloatMode: 240
; IeeeMode: 1
; LDSByteSize: 0 bytes/workgroup (compile time only)
; SGPRBlocks: 3
; VGPRBlocks: 16
; NumSGPRsForWavesPerEU: 29
; NumVGPRsForWavesPerEU: 134
; Occupancy: 7
; WaveLimiterHint : 1
; COMPUTE_PGM_RSRC2:SCRATCH_EN: 0
; COMPUTE_PGM_RSRC2:USER_SGPR: 6
; COMPUTE_PGM_RSRC2:TRAP_HANDLER: 0
; COMPUTE_PGM_RSRC2:TGID_X_EN: 1
; COMPUTE_PGM_RSRC2:TGID_Y_EN: 0
; COMPUTE_PGM_RSRC2:TGID_Z_EN: 0
; COMPUTE_PGM_RSRC2:TIDIG_COMP_CNT: 0
	.text
	.p2alignl 6, 3214868480
	.fill 48, 4, 3214868480
	.type	__hip_cuid_bd803cb76ef6f701,@object ; @__hip_cuid_bd803cb76ef6f701
	.section	.bss,"aw",@nobits
	.globl	__hip_cuid_bd803cb76ef6f701
__hip_cuid_bd803cb76ef6f701:
	.byte	0                               ; 0x0
	.size	__hip_cuid_bd803cb76ef6f701, 1

	.ident	"AMD clang version 19.0.0git (https://github.com/RadeonOpenCompute/llvm-project roc-6.4.0 25133 c7fe45cf4b819c5991fe208aaa96edf142730f1d)"
	.section	".note.GNU-stack","",@progbits
	.addrsig
	.addrsig_sym __hip_cuid_bd803cb76ef6f701
	.amdgpu_metadata
---
amdhsa.kernels:
  - .args:
      - .actual_access:  read_only
        .address_space:  global
        .offset:         0
        .size:           8
        .value_kind:     global_buffer
      - .offset:         8
        .size:           8
        .value_kind:     by_value
      - .actual_access:  read_only
        .address_space:  global
        .offset:         16
        .size:           8
        .value_kind:     global_buffer
      - .actual_access:  read_only
        .address_space:  global
        .offset:         24
        .size:           8
        .value_kind:     global_buffer
      - .actual_access:  read_only
        .address_space:  global
        .offset:         32
        .size:           8
        .value_kind:     global_buffer
      - .offset:         40
        .size:           8
        .value_kind:     by_value
      - .actual_access:  read_only
        .address_space:  global
        .offset:         48
        .size:           8
        .value_kind:     global_buffer
      - .actual_access:  read_only
        .address_space:  global
        .offset:         56
        .size:           8
        .value_kind:     global_buffer
      - .offset:         64
        .size:           4
        .value_kind:     by_value
      - .actual_access:  read_only
        .address_space:  global
        .offset:         72
        .size:           8
        .value_kind:     global_buffer
      - .actual_access:  read_only
        .address_space:  global
        .offset:         80
        .size:           8
        .value_kind:     global_buffer
      - .actual_access:  read_only
        .address_space:  global
        .offset:         88
        .size:           8
        .value_kind:     global_buffer
      - .actual_access:  write_only
        .address_space:  global
        .offset:         96
        .size:           8
        .value_kind:     global_buffer
    .group_segment_fixed_size: 0
    .kernarg_segment_align: 8
    .kernarg_segment_size: 104
    .language:       OpenCL C
    .language_version:
      - 2
      - 0
    .max_flat_workgroup_size: 63
    .name:           fft_rtc_fwd_len1701_factors_3_3_3_3_3_7_wgs_63_tpt_63_halfLds_sp_op_CI_CI_unitstride_sbrr_dirReg
    .private_segment_fixed_size: 0
    .sgpr_count:     29
    .sgpr_spill_count: 0
    .symbol:         fft_rtc_fwd_len1701_factors_3_3_3_3_3_7_wgs_63_tpt_63_halfLds_sp_op_CI_CI_unitstride_sbrr_dirReg.kd
    .uniform_work_group_size: 1
    .uses_dynamic_stack: false
    .vgpr_count:     134
    .vgpr_spill_count: 0
    .wavefront_size: 32
    .workgroup_processor_mode: 1
amdhsa.target:   amdgcn-amd-amdhsa--gfx1030
amdhsa.version:
  - 1
  - 2
...

	.end_amdgpu_metadata
